;; amdgpu-corpus repo=GPUOpen-LibrariesAndSDKs/Orochi kind=compiled arch=gfx906 opt=O3
	.amdgcn_target "amdgcn-amd-amdhsa--gfx906"
	.amdhsa_code_object_version 6
	.text
	.protected	SortSinglePassKernel    ; -- Begin function SortSinglePassKernel
	.globl	SortSinglePassKernel
	.p2align	8
	.type	SortSinglePassKernel,@function
SortSinglePassKernel:                   ; @SortSinglePassKernel
; %bb.0:
	s_mov_b64 s[78:79], s[2:3]
	s_mov_b64 s[76:77], s[0:1]
	s_add_u32 s76, s76, s7
	s_addc_u32 s77, s77, 0
	s_cmp_lg_u32 s6, 0
	s_cbranch_scc0 .LBB0_2
.LBB0_1:
	s_endpgm
.LBB0_2:
	s_load_dwordx8 s[64:71], s[4:5], 0x0
	v_mul_u32_u24_e32 v25, 24, v0
	v_mov_b32_e32 v22, -1
	v_lshlrev_b32_e32 v12, 2, v25
	v_mov_b32_e32 v21, -1
	s_waitcnt lgkmcnt(0)
	v_cmp_gt_i32_e32 vcc, s68, v25
	s_and_saveexec_b64 s[0:1], vcc
	s_cbranch_execz .LBB0_4
; %bb.3:
	global_load_dword v21, v12, s[64:65]
.LBB0_4:
	s_or_b64 exec, exec, s[0:1]
	v_or_b32_e32 v1, 1, v25
	v_cmp_gt_i32_e64 s[0:1], s68, v1
	s_waitcnt vmcnt(0)
	ds_write_b32 v12, v21
	s_and_saveexec_b64 s[2:3], s[0:1]
	s_cbranch_execz .LBB0_6
; %bb.5:
	global_load_dword v22, v12, s[64:65] offset:4
.LBB0_6:
	s_or_b64 exec, exec, s[2:3]
	v_or_b32_e32 v1, 2, v25
	v_cmp_gt_i32_e64 s[2:3], s68, v1
	v_mov_b32_e32 v24, -1
	v_mov_b32_e32 v23, -1
	s_waitcnt vmcnt(0)
	ds_write_b32 v12, v22 offset:4
	s_and_saveexec_b64 s[4:5], s[2:3]
	s_cbranch_execz .LBB0_8
; %bb.7:
	global_load_dword v23, v12, s[64:65] offset:8
.LBB0_8:
	s_or_b64 exec, exec, s[4:5]
	v_or_b32_e32 v1, 3, v25
	v_cmp_gt_i32_e64 s[4:5], s68, v1
	s_waitcnt vmcnt(0)
	ds_write_b32 v12, v23 offset:8
	s_and_saveexec_b64 s[6:7], s[4:5]
	s_cbranch_execz .LBB0_10
; %bb.9:
	global_load_dword v24, v12, s[64:65] offset:12
.LBB0_10:
	s_or_b64 exec, exec, s[6:7]
	v_or_b32_e32 v1, 4, v25
	v_cmp_gt_i32_e64 s[6:7], s68, v1
	v_mov_b32_e32 v18, -1
	v_mov_b32_e32 v17, -1
	s_waitcnt vmcnt(0)
	ds_write_b32 v12, v24 offset:12
	s_and_saveexec_b64 s[8:9], s[6:7]
	s_cbranch_execz .LBB0_12
; %bb.11:
	global_load_dword v17, v12, s[64:65] offset:16
.LBB0_12:
	s_or_b64 exec, exec, s[8:9]
	v_or_b32_e32 v1, 5, v25
	v_cmp_gt_i32_e64 s[8:9], s68, v1
	s_waitcnt vmcnt(0)
	ds_write_b32 v12, v17 offset:16
	s_and_saveexec_b64 s[10:11], s[8:9]
	s_cbranch_execz .LBB0_14
; %bb.13:
	global_load_dword v18, v12, s[64:65] offset:20
.LBB0_14:
	s_or_b64 exec, exec, s[10:11]
	v_or_b32_e32 v1, 6, v25
	v_cmp_gt_i32_e64 s[10:11], s68, v1
	v_mov_b32_e32 v20, -1
	v_mov_b32_e32 v19, -1
	s_waitcnt vmcnt(0)
	ds_write_b32 v12, v18 offset:20
	s_and_saveexec_b64 s[12:13], s[10:11]
	s_cbranch_execz .LBB0_16
; %bb.15:
	global_load_dword v19, v12, s[64:65] offset:24
.LBB0_16:
	s_or_b64 exec, exec, s[12:13]
	v_or_b32_e32 v1, 7, v25
	v_cmp_gt_i32_e64 s[12:13], s68, v1
	s_waitcnt vmcnt(0)
	ds_write_b32 v12, v19 offset:24
	s_and_saveexec_b64 s[14:15], s[12:13]
	s_cbranch_execz .LBB0_18
; %bb.17:
	global_load_dword v20, v12, s[64:65] offset:28
.LBB0_18:
	s_or_b64 exec, exec, s[14:15]
	v_add_u32_e32 v1, 8, v25
	v_cmp_gt_i32_e64 s[14:15], s68, v1
	v_mov_b32_e32 v14, -1
	v_mov_b32_e32 v13, -1
	s_waitcnt vmcnt(0)
	ds_write_b32 v12, v20 offset:28
	s_and_saveexec_b64 s[16:17], s[14:15]
	s_cbranch_execz .LBB0_20
; %bb.19:
	global_load_dword v13, v12, s[64:65] offset:32
.LBB0_20:
	s_or_b64 exec, exec, s[16:17]
	v_add_u32_e32 v1, 9, v25
	v_cmp_gt_i32_e64 s[16:17], s68, v1
	s_waitcnt vmcnt(0)
	ds_write_b32 v12, v13 offset:32
	s_and_saveexec_b64 s[18:19], s[16:17]
	s_cbranch_execz .LBB0_22
; %bb.21:
	global_load_dword v14, v12, s[64:65] offset:36
.LBB0_22:
	s_or_b64 exec, exec, s[18:19]
	v_add_u32_e32 v1, 10, v25
	v_cmp_gt_i32_e64 s[18:19], s68, v1
	v_mov_b32_e32 v16, -1
	v_mov_b32_e32 v15, -1
	s_waitcnt vmcnt(0)
	ds_write_b32 v12, v14 offset:36
	s_and_saveexec_b64 s[20:21], s[18:19]
	s_cbranch_execz .LBB0_24
; %bb.23:
	global_load_dword v15, v12, s[64:65] offset:40
.LBB0_24:
	s_or_b64 exec, exec, s[20:21]
	v_add_u32_e32 v1, 11, v25
	v_cmp_gt_i32_e64 s[20:21], s68, v1
	s_waitcnt vmcnt(0)
	ds_write_b32 v12, v15 offset:40
	;; [unrolled: 22-line block ×7, first 2 shown]
	s_and_saveexec_b64 s[44:45], s[42:43]
	s_cbranch_execz .LBB0_46
; %bb.45:
	global_load_dword v10, v12, s[64:65] offset:84
.LBB0_46:
	s_or_b64 exec, exec, s[44:45]
	v_add_u32_e32 v11, 22, v25
	s_waitcnt vmcnt(0)
	ds_write_b32 v12, v10 offset:84
	v_cmp_gt_i32_e64 s[44:45], s68, v11
	v_mov_b32_e32 v26, v12
	v_mov_b32_e32 v12, -1
	v_mov_b32_e32 v11, -1
	s_and_saveexec_b64 s[46:47], s[44:45]
	s_cbranch_execz .LBB0_48
; %bb.47:
	global_load_dword v11, v26, s[64:65] offset:88
.LBB0_48:
	s_or_b64 exec, exec, s[46:47]
	v_add_u32_e32 v25, 23, v25
	v_cmp_gt_i32_e64 s[46:47], s68, v25
	s_waitcnt vmcnt(0)
	ds_write_b32 v26, v11 offset:88
	s_and_saveexec_b64 s[48:49], s[46:47]
	s_cbranch_execz .LBB0_50
; %bb.49:
	global_load_dword v12, v26, s[64:65] offset:92
.LBB0_50:
	s_or_b64 exec, exec, s[48:49]
	s_cmp_lt_i32 s69, s70
	buffer_store_dword v26, off, s[76:79], 0 offset:276 ; 4-byte Folded Spill
	s_waitcnt vmcnt(1)
	ds_write_b32 v26, v12 offset:92
	s_waitcnt vmcnt(0) lgkmcnt(0)
	s_barrier
	s_cbranch_scc0 .LBB0_149
; %bb.51:
	v_mov_b32_e32 v25, 0x3000
	v_lshl_add_u32 v34, v0, 5, v25
	v_lshlrev_b32_e32 v25, 1, v0
	v_or_b32_e32 v26, 1, v25
	v_add_u32_e32 v25, 2, v25
	v_lshlrev_b32_e32 v28, 2, v26
	s_mov_b32 s62, 0
	buffer_store_dword v28, off, s[76:79], 0 ; 4-byte Folded Spill
	v_lshlrev_b32_e32 v28, 2, v25
	buffer_store_dword v28, off, s[76:79], 0 offset:4 ; 4-byte Folded Spill
	s_mov_b32 s63, s62
	v_mov_b32_e32 v28, s62
	v_lshlrev_b32_e32 v35, 3, v0
	v_cmp_gt_u32_e64 s[48:49], 64, v0
	v_cmp_gt_u32_e64 s[50:51], 32, v0
	;; [unrolled: 1-line block ×6, first 2 shown]
	v_cmp_eq_u32_e64 s[60:61], 0, v0
	v_lshlrev_b32_e32 v37, 4, v25
	v_lshlrev_b32_e32 v38, 4, v26
	;; [unrolled: 1-line block ×10, first 2 shown]
	v_mul_i32_i24_e32 v27, 0xffffffe4, v0
	v_lshlrev_b32_e32 v26, 3, v26
	v_lshlrev_b32_e32 v25, 3, v25
	v_mul_u32_u24_e32 v0, 0x60, v0
	v_mov_b32_e32 v29, s63
	buffer_store_dword v26, off, s[76:79], 0 offset:8 ; 4-byte Folded Spill
	buffer_store_dword v25, off, s[76:79], 0 offset:12 ; 4-byte Folded Spill
	;; [unrolled: 1-line block ×3, first 2 shown]
	s_mov_b32 s64, s62
	buffer_store_dword v28, off, s[76:79], 0 offset:260 ; 4-byte Folded Spill
	s_nop 0
	buffer_store_dword v29, off, s[76:79], 0 offset:264 ; 4-byte Folded Spill
	s_mov_b32 s65, s62
	v_mov_b32_e32 v28, s64
	v_add_u32_e32 v36, 0x4020, v35
	v_mov_b32_e32 v25, 0
	v_mov_b32_e32 v29, s65
	v_add_u32_e32 v0, v34, v27
	v_mov_b32_e32 v53, 2
	buffer_store_dword v28, off, s[76:79], 0 offset:268 ; 4-byte Folded Spill
	s_nop 0
	buffer_store_dword v29, off, s[76:79], 0 offset:272 ; 4-byte Folded Spill
	buffer_store_dword v0, off, s[76:79], 0 offset:20 ; 4-byte Folded Spill
	s_branch .LBB0_53
.LBB0_52:                               ;   in Loop: Header=BB0_53 Depth=1
	s_or_b64 exec, exec, s[62:63]
	buffer_load_dword v26, off, s[76:79], 0 offset:252 ; 4-byte Folded Reload
	buffer_load_dword v31, off, s[76:79], 0 offset:256 ; 4-byte Folded Reload
	s_waitcnt vmcnt(0) lgkmcnt(0)
	s_barrier
	s_barrier
	s_barrier
	s_add_i32 s69, s69, 8
	s_cmp_ge_i32 s69, s70
	v_lshl_or_b32 v26, v26, 3, v31
	ds_read_u16 v26, v26 offset:16384
	ds_read_u16 v31, v62
	s_waitcnt lgkmcnt(0)
	v_add_u16_e32 v32, 1, v31
	ds_write_b16 v62, v32
	buffer_load_dword v32, off, s[76:79], 0 offset:208 ; 4-byte Folded Reload
	buffer_load_dword v47, off, s[76:79], 0 offset:240 ; 4-byte Folded Reload
	s_waitcnt vmcnt(0)
	v_lshl_or_b32 v32, v32, 3, v47
	ds_read_u16 v32, v32 offset:16384
	ds_read_u16 v47, v51
	s_waitcnt lgkmcnt(0)
	v_add_u16_e32 v48, 1, v47
	ds_write_b16 v51, v48
	buffer_load_dword v48, off, s[76:79], 0 offset:224 ; 4-byte Folded Reload
	buffer_load_dword v49, off, s[76:79], 0 offset:244 ; 4-byte Folded Reload
	s_waitcnt vmcnt(0)
	v_lshl_or_b32 v48, v48, 3, v49
	ds_read_u16 v48, v48 offset:16384
	ds_read_u16 v49, v24
	s_waitcnt lgkmcnt(0)
	v_add_u16_e32 v50, 1, v49
	ds_write_b16 v24, v50
	v_lshlrev_b32_sdwa v24, v53, v31 dst_sel:DWORD dst_unused:UNUSED_PAD src0_sel:DWORD src1_sel:WORD_0
	v_lshl_add_u32 v24, v26, 2, v24
	ds_write_b32 v24, v20
	v_lshlrev_b32_sdwa v20, v53, v47 dst_sel:DWORD dst_unused:UNUSED_PAD src0_sel:DWORD src1_sel:WORD_0
	v_lshl_add_u32 v20, v32, 2, v20
	ds_write_b32 v20, v21
	;; [unrolled: 3-line block ×3, first 2 shown]
	buffer_load_dword v20, off, s[76:79], 0 offset:156 ; 4-byte Folded Reload
	buffer_load_dword v21, off, s[76:79], 0 offset:196 ; 4-byte Folded Reload
	s_waitcnt vmcnt(0)
	v_lshl_or_b32 v20, v20, 3, v21
	ds_read_u16 v20, v20 offset:16384
	ds_read_u16 v21, v27
	s_waitcnt lgkmcnt(0)
	v_lshlrev_b32_sdwa v22, v53, v21 dst_sel:DWORD dst_unused:UNUSED_PAD src0_sel:DWORD src1_sel:WORD_0
	v_lshl_add_u32 v20, v20, 2, v22
	ds_write_b32 v20, v23
	v_add_u16_e32 v20, 1, v21
	ds_write_b16 v27, v20
	buffer_load_dword v20, off, s[76:79], 0 offset:160 ; 4-byte Folded Reload
	buffer_load_dword v21, off, s[76:79], 0 offset:200 ; 4-byte Folded Reload
	s_waitcnt vmcnt(0)
	v_lshl_or_b32 v20, v20, 3, v21
	ds_read_u16 v20, v20 offset:16384
	ds_read_u16 v21, v61
	s_waitcnt lgkmcnt(0)
	v_add_u16_e32 v22, 1, v21
	ds_write_b16 v61, v22
	buffer_load_dword v22, off, s[76:79], 0 offset:172 ; 4-byte Folded Reload
	buffer_load_dword v23, off, s[76:79], 0 offset:216 ; 4-byte Folded Reload
	v_lshlrev_b32_sdwa v21, v53, v21 dst_sel:DWORD dst_unused:UNUSED_PAD src0_sel:DWORD src1_sel:WORD_0
	v_lshl_add_u32 v20, v20, 2, v21
	s_waitcnt vmcnt(0)
	v_lshl_or_b32 v22, v22, 3, v23
	ds_read_u16 v22, v22 offset:16384
	ds_read_u16 v23, v28
	s_waitcnt lgkmcnt(0)
	v_add_u16_e32 v24, 1, v23
	ds_write_b16 v28, v24
	buffer_load_dword v24, off, s[76:79], 0 offset:180 ; 4-byte Folded Reload
	buffer_load_dword v26, off, s[76:79], 0 offset:228 ; 4-byte Folded Reload
	s_waitcnt vmcnt(0)
	v_lshl_or_b32 v24, v24, 3, v26
	ds_read_u16 v24, v24 offset:16384
	ds_read_u16 v26, v30
	ds_write_b32 v20, v12
	v_lshlrev_b32_sdwa v12, v53, v23 dst_sel:DWORD dst_unused:UNUSED_PAD src0_sel:DWORD src1_sel:WORD_0
	v_lshl_add_u32 v12, v22, 2, v12
	ds_write_b32 v12, v13
	s_waitcnt lgkmcnt(2)
	v_lshlrev_b32_sdwa v12, v53, v26 dst_sel:DWORD dst_unused:UNUSED_PAD src0_sel:DWORD src1_sel:WORD_0
	v_add_u16_e32 v27, 1, v26
	v_lshl_add_u32 v12, v24, 2, v12
	ds_write_b16 v30, v27
	ds_write_b32 v12, v14
	buffer_load_dword v12, off, s[76:79], 0 offset:144 ; 4-byte Folded Reload
	buffer_load_dword v13, off, s[76:79], 0 offset:168 ; 4-byte Folded Reload
	;; [unrolled: 1-line block ×3, first 2 shown]
	s_waitcnt vmcnt(1)
	v_lshl_or_b32 v12, v12, 3, v13
	ds_read_u16 v12, v12 offset:16384
	s_waitcnt vmcnt(0)
	ds_read_u16 v13, v20
	s_waitcnt lgkmcnt(0)
	v_lshlrev_b32_sdwa v14, v53, v13 dst_sel:DWORD dst_unused:UNUSED_PAD src0_sel:DWORD src1_sel:WORD_0
	v_lshl_add_u32 v12, v12, 2, v14
	ds_write_b32 v12, v15
	v_add_u16_e32 v12, 1, v13
	ds_write_b16 v20, v12
	buffer_load_dword v12, off, s[76:79], 0 offset:148 ; 4-byte Folded Reload
	buffer_load_dword v13, off, s[76:79], 0 offset:188 ; 4-byte Folded Reload
	s_waitcnt vmcnt(0)
	v_lshl_or_b32 v12, v12, 3, v13
	ds_read_u16 v12, v12 offset:16384
	ds_read_u16 v13, v52
	s_waitcnt lgkmcnt(0)
	v_add_u16_e32 v14, 1, v13
	ds_write_b16 v52, v14
	buffer_load_dword v14, off, s[76:79], 0 offset:164 ; 4-byte Folded Reload
	buffer_load_dword v15, off, s[76:79], 0 offset:204 ; 4-byte Folded Reload
	v_lshlrev_b32_sdwa v13, v53, v13 dst_sel:DWORD dst_unused:UNUSED_PAD src0_sel:DWORD src1_sel:WORD_0
	v_lshl_add_u32 v12, v12, 2, v13
	s_waitcnt vmcnt(0)
	v_lshl_or_b32 v14, v14, 3, v15
	ds_read_u16 v14, v14 offset:16384
	ds_read_u16 v15, v63
	s_waitcnt lgkmcnt(0)
	v_add_u16_e32 v20, 1, v15
	ds_write_b16 v63, v20
	buffer_load_dword v20, off, s[76:79], 0 offset:176 ; 4-byte Folded Reload
	buffer_load_dword v21, off, s[76:79], 0 offset:220 ; 4-byte Folded Reload
	s_waitcnt vmcnt(0)
	v_lshl_or_b32 v20, v20, 3, v21
	ds_read_u16 v20, v20 offset:16384
	ds_read_u16 v21, v33
	s_waitcnt lgkmcnt(0)
	v_add_u16_e32 v22, 1, v21
	ds_write_b16 v33, v22
	buffer_load_dword v22, off, s[76:79], 0 offset:184 ; 4-byte Folded Reload
	buffer_load_dword v23, off, s[76:79], 0 offset:232 ; 4-byte Folded Reload
	s_waitcnt vmcnt(0)
	v_lshl_or_b32 v22, v22, 3, v23
	ds_read_u16 v22, v22 offset:16384
	ds_read_u16 v23, v55
	s_waitcnt lgkmcnt(0)
	v_add_u16_e32 v24, 1, v23
	ds_write_b16 v55, v24
	buffer_load_dword v24, off, s[76:79], 0 offset:212 ; 4-byte Folded Reload
	buffer_load_dword v26, off, s[76:79], 0 offset:248 ; 4-byte Folded Reload
	s_waitcnt vmcnt(0)
	v_lshl_or_b32 v24, v24, 3, v26
	ds_read_u16 v24, v24 offset:16384
	ds_read_u16 v26, v54
	s_waitcnt lgkmcnt(0)
	v_add_u16_e32 v27, 1, v26
	ds_write_b16 v54, v27
	buffer_load_dword v13, off, s[76:79], 0 offset:192 ; 4-byte Folded Reload
	buffer_load_dword v27, off, s[76:79], 0 offset:236 ; 4-byte Folded Reload
	s_waitcnt vmcnt(0)
	v_lshl_or_b32 v13, v13, 3, v27
	ds_read_u16 v27, v29
	ds_read_u16 v13, v13 offset:16384
	ds_write_b32 v12, v8
	v_lshlrev_b32_sdwa v8, v53, v15 dst_sel:DWORD dst_unused:UNUSED_PAD src0_sel:DWORD src1_sel:WORD_0
	v_lshl_add_u32 v8, v14, 2, v8
	s_waitcnt lgkmcnt(2)
	v_add_u16_e32 v12, 1, v27
	ds_write_b16 v29, v12
	buffer_load_dword v12, off, s[76:79], 0 offset:140 ; 4-byte Folded Reload
	buffer_load_dword v14, off, s[76:79], 0 offset:152 ; 4-byte Folded Reload
	;; [unrolled: 1-line block ×3, first 2 shown]
	ds_write_b32 v8, v9
	v_lshlrev_b32_sdwa v8, v53, v21 dst_sel:DWORD dst_unused:UNUSED_PAD src0_sel:DWORD src1_sel:WORD_0
	v_lshl_add_u32 v8, v20, 2, v8
	ds_write_b32 v8, v10
	v_lshlrev_b32_sdwa v10, v53, v23 dst_sel:DWORD dst_unused:UNUSED_PAD src0_sel:DWORD src1_sel:WORD_0
	v_lshl_add_u32 v10, v22, 2, v10
	s_waitcnt vmcnt(1)
	v_lshl_or_b32 v12, v12, 3, v14
	ds_read_u16 v12, v12 offset:16384
	s_waitcnt vmcnt(0)
	ds_read_u16 v14, v15
	s_waitcnt lgkmcnt(0)
	v_add_u16_e32 v8, 1, v14
	ds_write_b16 v15, v8
	buffer_load_dword v8, off, s[76:79], 0 offset:108 ; 4-byte Folded Reload
	buffer_load_dword v9, off, s[76:79], 0 offset:124 ; 4-byte Folded Reload
	buffer_load_dword v15, off, s[76:79], 0 offset:84 ; 4-byte Folded Reload
	ds_write_b32 v10, v11
	v_lshlrev_b32_sdwa v10, v53, v26 dst_sel:DWORD dst_unused:UNUSED_PAD src0_sel:DWORD src1_sel:WORD_0
	v_lshl_add_u32 v10, v24, 2, v10
	s_waitcnt vmcnt(1)
	v_lshl_or_b32 v8, v8, 3, v9
	ds_read_u16 v8, v8 offset:16384
	s_waitcnt vmcnt(0)
	ds_read_u16 v9, v15
	s_waitcnt lgkmcnt(0)
	v_add_u16_e32 v11, 1, v9
	ds_write_b16 v15, v11
	buffer_load_dword v11, off, s[76:79], 0 offset:116 ; 4-byte Folded Reload
	buffer_load_dword v15, off, s[76:79], 0 offset:128 ; 4-byte Folded Reload
	buffer_load_dword v20, off, s[76:79], 0 offset:96 ; 4-byte Folded Reload
	;; [unrolled: 14-line block ×3, first 2 shown]
	ds_write_b32 v0, v1
	v_lshlrev_b32_sdwa v0, v53, v14 dst_sel:DWORD dst_unused:UNUSED_PAD src0_sel:DWORD src1_sel:WORD_0
	v_lshl_add_u32 v0, v12, 2, v0
	ds_write_b32 v0, v2
	v_lshlrev_b32_sdwa v2, v53, v9 dst_sel:DWORD dst_unused:UNUSED_PAD src0_sel:DWORD src1_sel:WORD_0
	v_lshl_add_u32 v2, v8, 2, v2
	s_waitcnt vmcnt(1)
	v_lshl_or_b32 v10, v10, 3, v13
	ds_read_u16 v10, v10 offset:16384
	s_waitcnt vmcnt(0)
	ds_read_u16 v13, v20
	s_waitcnt lgkmcnt(0)
	v_add_u16_e32 v0, 1, v13
	ds_write_b16 v20, v0
	buffer_load_dword v0, off, s[76:79], 0 offset:88 ; 4-byte Folded Reload
	buffer_load_dword v1, off, s[76:79], 0 offset:112 ; 4-byte Folded Reload
	;; [unrolled: 1-line block ×3, first 2 shown]
	ds_write_b32 v2, v3
	v_lshlrev_b32_sdwa v2, v53, v15 dst_sel:DWORD dst_unused:UNUSED_PAD src0_sel:DWORD src1_sel:WORD_0
	v_lshl_add_u32 v2, v11, 2, v2
	s_waitcnt vmcnt(1)
	v_lshl_or_b32 v0, v0, 3, v1
	ds_read_u16 v0, v0 offset:16384
	s_waitcnt vmcnt(0)
	ds_read_u16 v1, v12
	s_waitcnt lgkmcnt(0)
	v_add_u16_e32 v3, 1, v1
	ds_write_b16 v12, v3
	buffer_load_dword v3, off, s[76:79], 0 offset:72 ; 4-byte Folded Reload
	buffer_load_dword v8, off, s[76:79], 0 offset:100 ; 4-byte Folded Reload
	;; [unrolled: 1-line block ×3, first 2 shown]
	ds_write_b32 v2, v16
	v_lshlrev_b32_sdwa v2, v53, v13 dst_sel:DWORD dst_unused:UNUSED_PAD src0_sel:DWORD src1_sel:WORD_0
	v_lshl_add_u32 v2, v10, 2, v2
	v_lshlrev_b32_sdwa v1, v53, v1 dst_sel:DWORD dst_unused:UNUSED_PAD src0_sel:DWORD src1_sel:WORD_0
	v_lshl_add_u32 v0, v0, 2, v1
	s_waitcnt vmcnt(1)
	v_lshl_or_b32 v3, v3, 3, v8
	ds_read_u16 v3, v3 offset:16384
	s_waitcnt vmcnt(0)
	ds_read_u16 v8, v12
	s_waitcnt lgkmcnt(0)
	v_add_u16_e32 v9, 1, v8
	ds_write_b16 v12, v9
	buffer_load_dword v9, off, s[76:79], 0 offset:68 ; 4-byte Folded Reload
	buffer_load_dword v10, off, s[76:79], 0 offset:92 ; 4-byte Folded Reload
	;; [unrolled: 1-line block ×3, first 2 shown]
	ds_write_b32 v2, v17
	ds_write_b32 v0, v18
	v_lshlrev_b32_sdwa v2, v53, v8 dst_sel:DWORD dst_unused:UNUSED_PAD src0_sel:DWORD src1_sel:WORD_0
	v_lshl_add_u32 v2, v3, 2, v2
	s_waitcnt vmcnt(1)
	v_lshl_or_b32 v9, v9, 3, v10
	ds_read_u16 v9, v9 offset:16384
	s_waitcnt vmcnt(0)
	ds_read_u16 v10, v11
	s_waitcnt lgkmcnt(0)
	v_add_u16_e32 v0, 1, v10
	ds_write_b16 v11, v0
	buffer_load_dword v0, off, s[76:79], 0 offset:56 ; 4-byte Folded Reload
	buffer_load_dword v1, off, s[76:79], 0 offset:76 ; 4-byte Folded Reload
	;; [unrolled: 1-line block ×3, first 2 shown]
	ds_write_b32 v2, v19
	v_lshlrev_b32_sdwa v2, v53, v10 dst_sel:DWORD dst_unused:UNUSED_PAD src0_sel:DWORD src1_sel:WORD_0
	v_lshl_add_u32 v2, v9, 2, v2
	s_waitcnt vmcnt(1)
	v_lshl_or_b32 v0, v0, 3, v1
	ds_read_u16 v0, v0 offset:16384
	s_waitcnt vmcnt(0)
	ds_read_u16 v1, v11
	s_waitcnt lgkmcnt(0)
	v_add_u16_e32 v3, 1, v1
	ds_write_b16 v11, v3
	buffer_load_dword v3, off, s[76:79], 0 offset:40 ; 4-byte Folded Reload
	buffer_load_dword v8, off, s[76:79], 0 offset:60 ; 4-byte Folded Reload
	;; [unrolled: 1-line block ×3, first 2 shown]
	v_lshlrev_b32_sdwa v1, v53, v1 dst_sel:DWORD dst_unused:UNUSED_PAD src0_sel:DWORD src1_sel:WORD_0
	v_lshl_add_u32 v0, v0, 2, v1
	ds_write_b32 v2, v4
	s_waitcnt vmcnt(1)
	v_lshl_or_b32 v3, v3, 3, v8
	ds_read_u16 v3, v3 offset:16384
	s_waitcnt vmcnt(0)
	ds_read_u16 v8, v10
	s_waitcnt lgkmcnt(0)
	v_add_u16_e32 v1, 1, v8
	ds_write_b16 v10, v1
	buffer_load_dword v1, off, s[76:79], 0 offset:32 ; 4-byte Folded Reload
	buffer_load_dword v2, off, s[76:79], 0 offset:48 ; 4-byte Folded Reload
	;; [unrolled: 1-line block ×3, first 2 shown]
	ds_write_b32 v0, v5
	v_lshlrev_b32_sdwa v0, v53, v8 dst_sel:DWORD dst_unused:UNUSED_PAD src0_sel:DWORD src1_sel:WORD_0
	v_lshl_add_u32 v0, v3, 2, v0
	ds_write_b32 v0, v6
	s_waitcnt vmcnt(1)
	v_lshl_or_b32 v1, v1, 3, v2
	ds_read_u16 v1, v1 offset:16384
	s_waitcnt vmcnt(0)
	ds_read_u16 v2, v4
	s_waitcnt lgkmcnt(0)
	v_add_u16_e32 v0, 1, v2
	ds_write_b16 v4, v0
	v_lshlrev_b32_sdwa v0, v53, v2 dst_sel:DWORD dst_unused:UNUSED_PAD src0_sel:DWORD src1_sel:WORD_0
	v_lshl_add_u32 v0, v1, 2, v0
	ds_write_b32 v0, v7
	s_waitcnt lgkmcnt(0)
	s_barrier
	buffer_load_dword v0, off, s[76:79], 0 offset:16 ; 4-byte Folded Reload
	s_waitcnt vmcnt(0)
	ds_read_b128 v[21:24], v0
	ds_read_b128 v[17:20], v0 offset:16
	ds_read_b128 v[13:16], v0 offset:32
	;; [unrolled: 1-line block ×5, first 2 shown]
	s_cbranch_scc1 .LBB0_149
.LBB0_53:                               ; =>This Loop Header: Depth=1
                                        ;     Child Loop BB0_55 Depth 2
                                        ;     Child Loop BB0_103 Depth 2
	buffer_load_dword v26, off, s[76:79], 0 offset:260 ; 4-byte Folded Reload
	buffer_load_dword v27, off, s[76:79], 0 offset:264 ; 4-byte Folded Reload
	;; [unrolled: 1-line block ×4, first 2 shown]
	s_waitcnt lgkmcnt(5)
	v_ashrrev_i32_e32 v0, s69, v21
	s_mov_b32 s33, 0
	s_waitcnt vmcnt(0)
	ds_write2_b64 v34, v[26:27], v[28:29] offset1:1
	ds_write2_b64 v34, v[26:27], v[28:29] offset0:2 offset1:3
	v_bfe_u32 v26, v0, 2, 2
	v_and_b32_e32 v0, 3, v0
	buffer_store_dword v26, off, s[76:79], 0 offset:244 ; 4-byte Folded Spill
	v_lshlrev_b32_e32 v26, 3, v26
	v_lshlrev_b32_e32 v0, 1, v0
	v_add3_u32 v63, v34, v26, v0
	buffer_store_dword v0, off, s[76:79], 0 offset:248 ; 4-byte Folded Spill
	ds_read_u16 v0, v63
	s_waitcnt lgkmcnt(0)
	v_add_u16_e32 v0, 1, v0
	ds_write_b16 v63, v0
	v_ashrrev_i32_e32 v0, s69, v22
	v_bfe_u32 v26, v0, 2, 2
	v_and_b32_e32 v0, 3, v0
	buffer_store_dword v26, off, s[76:79], 0 offset:204 ; 4-byte Folded Spill
	v_lshlrev_b32_e32 v26, 3, v26
	v_lshlrev_b32_e32 v0, 1, v0
	v_add3_u32 v55, v34, v26, v0
	buffer_store_dword v0, off, s[76:79], 0 offset:232 ; 4-byte Folded Spill
	ds_read_u16 v0, v55
	s_waitcnt lgkmcnt(0)
	v_add_u16_e32 v0, 1, v0
	ds_write_b16 v55, v0
	v_ashrrev_i32_e32 v0, s69, v23
	v_bfe_u32 v26, v0, 2, 2
	v_and_b32_e32 v0, 3, v0
	buffer_store_dword v26, off, s[76:79], 0 offset:220 ; 4-byte Folded Spill
	v_lshlrev_b32_e32 v26, 3, v26
	v_lshlrev_b32_e32 v0, 1, v0
	buffer_store_dword v0, off, s[76:79], 0 offset:236 ; 4-byte Folded Spill
	v_add3_u32 v0, v34, v26, v0
	ds_read_u16 v26, v0
	s_waitcnt lgkmcnt(0)
	v_add_u16_e32 v26, 1, v26
	ds_write_b16 v0, v26
	v_ashrrev_i32_e32 v26, s69, v24
	v_bfe_u32 v27, v26, 2, 2
	v_and_b32_e32 v26, 3, v26
	buffer_store_dword v27, off, s[76:79], 0 offset:164 ; 4-byte Folded Spill
	v_lshlrev_b32_e32 v27, 3, v27
	v_lshlrev_b32_e32 v26, 1, v26
	v_add3_u32 v49, v34, v27, v26
	buffer_store_dword v26, off, s[76:79], 0 offset:196 ; 4-byte Folded Spill
	ds_read_u16 v26, v49
	s_waitcnt lgkmcnt(0)
	v_add_u16_e32 v26, 1, v26
	ds_write_b16 v49, v26
	v_ashrrev_i32_e32 v26, s69, v17
	v_bfe_u32 v27, v26, 2, 2
	v_and_b32_e32 v26, 3, v26
	buffer_store_dword v27, off, s[76:79], 0 offset:148 ; 4-byte Folded Spill
	v_lshlrev_b32_e32 v27, 3, v27
	v_lshlrev_b32_e32 v26, 1, v26
	v_add3_u32 v62, v34, v27, v26
	buffer_store_dword v26, off, s[76:79], 0 offset:184 ; 4-byte Folded Spill
	;; [unrolled: 12-line block ×7, first 2 shown]
	ds_read_u16 v26, v50
	s_waitcnt lgkmcnt(0)
	v_add_u16_e32 v26, 1, v26
	ds_write_b16 v50, v26
	v_ashrrev_i32_e32 v26, s69, v15
	v_bfe_u32 v27, v26, 2, 2
	v_and_b32_e32 v26, 3, v26
	v_lshlrev_b32_e32 v28, 1, v26
	v_lshlrev_b32_e32 v26, 3, v27
	v_add3_u32 v59, v34, v26, v28
	ds_read_u16 v26, v59
	buffer_store_dword v27, off, s[76:79], 0 offset:176 ; 4-byte Folded Spill
	buffer_store_dword v28, off, s[76:79], 0 offset:212 ; 4-byte Folded Spill
	s_waitcnt lgkmcnt(0)
	v_add_u16_e32 v26, 1, v26
	ds_write_b16 v59, v26
	v_ashrrev_i32_e32 v26, s69, v16
	v_bfe_u32 v27, v26, 2, 2
	v_and_b32_e32 v26, 3, v26
	v_lshlrev_b32_e32 v28, 1, v26
	v_lshlrev_b32_e32 v26, 3, v27
	v_add3_u32 v51, v34, v26, v28
	ds_read_u16 v26, v51
	buffer_store_dword v27, off, s[76:79], 0 offset:192 ; 4-byte Folded Spill
	buffer_store_dword v28, off, s[76:79], 0 offset:228 ; 4-byte Folded Spill
	;; [unrolled: 12-line block ×5, first 2 shown]
	s_waitcnt lgkmcnt(0)
	v_add_u16_e32 v26, 1, v26
	ds_write_b16 v61, v26
	v_ashrrev_i32_e32 v26, s69, v4
	v_bfe_u32 v27, v26, 2, 2
	v_and_b32_e32 v26, 3, v26
	v_lshlrev_b32_e32 v28, 1, v26
	v_lshlrev_b32_e32 v26, 3, v27
	buffer_store_dword v27, off, s[76:79], 0 offset:124 ; 4-byte Folded Spill
	v_add3_u32 v27, v34, v26, v28
	ds_read_u16 v26, v27
	buffer_store_dword v27, off, s[76:79], 0 offset:104 ; 4-byte Folded Spill
	buffer_store_dword v28, off, s[76:79], 0 offset:128 ; 4-byte Folded Spill
	s_waitcnt lgkmcnt(0)
	v_add_u16_e32 v26, 1, v26
	ds_write_b16 v27, v26
	v_ashrrev_i32_e32 v26, s69, v5
	v_bfe_u32 v27, v26, 2, 2
	v_and_b32_e32 v26, 3, v26
	v_lshlrev_b32_e32 v28, 1, v26
	v_lshlrev_b32_e32 v26, 3, v27
	buffer_store_dword v27, off, s[76:79], 0 offset:112 ; 4-byte Folded Spill
	v_add3_u32 v27, v34, v26, v28
	ds_read_u16 v26, v27
	buffer_store_dword v27, off, s[76:79], 0 offset:92 ; 4-byte Folded Spill
	buffer_store_dword v28, off, s[76:79], 0 offset:120 ; 4-byte Folded Spill
	;; [unrolled: 13-line block ×9, first 2 shown]
	s_waitcnt lgkmcnt(0)
	v_add_u16_e32 v26, 1, v26
	ds_write_b16 v27, v26
	s_waitcnt vmcnt(0) lgkmcnt(0)
	s_barrier
	s_branch .LBB0_55
.LBB0_54:                               ;   in Loop: Header=BB0_55 Depth=2
	s_or_b64 exec, exec, s[62:63]
	s_add_i32 s33, s33, 8
	s_cmp_eq_u32 s33, 32
	s_cbranch_scc1 .LBB0_85
.LBB0_55:                               ;   Parent Loop BB0_53 Depth=1
                                        ; =>  This Inner Loop Header: Depth=2
	v_add_u32_e32 v56, s33, v34
	ds_read_b64 v[26:27], v56
	s_waitcnt lgkmcnt(0)
	ds_write_b64 v36, v[26:27]
	s_waitcnt lgkmcnt(0)
	s_barrier
	s_and_saveexec_b64 s[64:65], s[48:49]
	s_cbranch_execz .LBB0_57
; %bb.56:                               ;   in Loop: Header=BB0_55 Depth=2
	v_add_u32_e32 v30, v36, v35
	ds_read_b128 v[26:29], v30
	s_waitcnt lgkmcnt(0)
	v_add_co_u32_e64 v26, s[62:63], v28, v26
	v_addc_co_u32_e64 v27, s[62:63], v29, v27, s[62:63]
	ds_write_b64 v30, v[26:27] offset:8
.LBB0_57:                               ;   in Loop: Header=BB0_55 Depth=2
	s_or_b64 exec, exec, s[64:65]
	s_waitcnt lgkmcnt(0)
	s_barrier
	s_and_saveexec_b64 s[64:65], s[50:51]
	s_cbranch_execz .LBB0_59
; %bb.58:                               ;   in Loop: Header=BB0_55 Depth=2
	ds_read_b64 v[26:27], v38 offset:16408
	ds_read_b64 v[28:29], v37 offset:16408
	s_waitcnt lgkmcnt(0)
	v_add_co_u32_e64 v26, s[62:63], v28, v26
	v_addc_co_u32_e64 v27, s[62:63], v29, v27, s[62:63]
	ds_write_b64 v37, v[26:27] offset:16408
.LBB0_59:                               ;   in Loop: Header=BB0_55 Depth=2
	s_or_b64 exec, exec, s[64:65]
	s_waitcnt lgkmcnt(0)
	s_barrier
	s_and_saveexec_b64 s[64:65], s[52:53]
	s_cbranch_execz .LBB0_61
; %bb.60:                               ;   in Loop: Header=BB0_55 Depth=2
	ds_read_b64 v[26:27], v40 offset:16408
	ds_read_b64 v[28:29], v39 offset:16408
	s_waitcnt lgkmcnt(0)
	v_add_co_u32_e64 v26, s[62:63], v28, v26
	v_addc_co_u32_e64 v27, s[62:63], v29, v27, s[62:63]
	ds_write_b64 v39, v[26:27] offset:16408
.LBB0_61:                               ;   in Loop: Header=BB0_55 Depth=2
	;; [unrolled: 13-line block ×5, first 2 shown]
	s_or_b64 exec, exec, s[64:65]
	s_waitcnt lgkmcnt(0)
	s_barrier
	s_and_saveexec_b64 s[64:65], s[60:61]
	s_cbranch_execz .LBB0_69
; %bb.68:                               ;   in Loop: Header=BB0_55 Depth=2
	v_add_u32_e64 v26, 24, 0
	ds_read2st64_b64 v[26:29], v26 offset0:33 offset1:34
	s_waitcnt lgkmcnt(0)
	v_add_co_u32_e64 v26, s[62:63], v28, v26
	v_addc_co_u32_e64 v27, s[62:63], v29, v27, s[62:63]
	ds_write_b64 v25, v[26:27] offset:17432
.LBB0_69:                               ;   in Loop: Header=BB0_55 Depth=2
	s_or_b64 exec, exec, s[64:65]
	s_waitcnt lgkmcnt(0)
	s_barrier
	s_barrier
	s_and_saveexec_b64 s[64:65], s[60:61]
	s_cbranch_execz .LBB0_71
; %bb.70:                               ;   in Loop: Header=BB0_55 Depth=2
	ds_read_b64 v[27:28], v25 offset:17432
	v_mov_b32_e32 v26, v25
	v_add_u32_e64 v30, 24, 0
	s_waitcnt lgkmcnt(0)
	ds_write_b64 v25, v[27:28] offset:17440
	s_waitcnt lgkmcnt(0)
	ds_write_b64 v25, v[25:26] offset:17432
	s_waitcnt lgkmcnt(0)
	ds_read2st64_b64 v[26:29], v30 offset0:33 offset1:34
	s_waitcnt lgkmcnt(0)
	v_add_co_u32_e64 v26, s[62:63], v28, v26
	v_addc_co_u32_e64 v27, s[62:63], v29, v27, s[62:63]
	ds_write2st64_b64 v30, v[28:29], v[26:27] offset0:33 offset1:34
.LBB0_71:                               ;   in Loop: Header=BB0_55 Depth=2
	s_or_b64 exec, exec, s[64:65]
	s_waitcnt lgkmcnt(0)
	s_barrier
	s_and_saveexec_b64 s[64:65], s[58:59]
	s_cbranch_execz .LBB0_73
; %bb.72:                               ;   in Loop: Header=BB0_55 Depth=2
	ds_read_b64 v[26:27], v45 offset:16408
	ds_read_b64 v[28:29], v46 offset:16408
	s_waitcnt lgkmcnt(1)
	ds_write_b64 v46, v[26:27] offset:16408
	s_waitcnt lgkmcnt(1)
	v_add_co_u32_e64 v26, s[62:63], v26, v28
	v_addc_co_u32_e64 v27, s[62:63], v27, v29, s[62:63]
	ds_write_b64 v45, v[26:27] offset:16408
.LBB0_73:                               ;   in Loop: Header=BB0_55 Depth=2
	s_or_b64 exec, exec, s[64:65]
	s_waitcnt lgkmcnt(0)
	s_barrier
	s_and_saveexec_b64 s[64:65], s[56:57]
	s_cbranch_execz .LBB0_75
; %bb.74:                               ;   in Loop: Header=BB0_55 Depth=2
	ds_read_b64 v[26:27], v43 offset:16408
	ds_read_b64 v[28:29], v44 offset:16408
	s_waitcnt lgkmcnt(1)
	ds_write_b64 v44, v[26:27] offset:16408
	s_waitcnt lgkmcnt(1)
	v_add_co_u32_e64 v26, s[62:63], v26, v28
	v_addc_co_u32_e64 v27, s[62:63], v27, v29, s[62:63]
	ds_write_b64 v43, v[26:27] offset:16408
.LBB0_75:                               ;   in Loop: Header=BB0_55 Depth=2
	;; [unrolled: 15-line block ×5, first 2 shown]
	s_or_b64 exec, exec, s[64:65]
	s_waitcnt lgkmcnt(0)
	s_barrier
	s_and_saveexec_b64 s[64:65], s[48:49]
	s_cbranch_execz .LBB0_83
; %bb.82:                               ;   in Loop: Header=BB0_55 Depth=2
	v_add_u32_e32 v52, v36, v35
	ds_read_b128 v[26:29], v52
	s_waitcnt lgkmcnt(0)
	v_add_co_u32_e64 v32, s[62:63], v28, v26
	v_addc_co_u32_e64 v33, s[62:63], v29, v27, s[62:63]
	v_mov_b32_e32 v30, v28
	v_mov_b32_e32 v31, v29
	ds_write_b128 v52, v[30:33]
.LBB0_83:                               ;   in Loop: Header=BB0_55 Depth=2
	s_or_b64 exec, exec, s[64:65]
	s_waitcnt lgkmcnt(0)
	s_barrier
	s_barrier
	ds_read_b64 v[31:32], v25 offset:17440
	s_waitcnt lgkmcnt(0)
	s_barrier
	ds_read_b64 v[26:27], v36
	s_waitcnt lgkmcnt(0)
	ds_write_b64 v56, v[26:27]
	s_and_saveexec_b64 s[62:63], s[60:61]
	s_cbranch_execz .LBB0_54
; %bb.84:                               ;   in Loop: Header=BB0_55 Depth=2
	v_mov_b32_e32 v26, s33
	ds_write_b64 v26, v[31:32] offset:16384
	s_branch .LBB0_54
.LBB0_85:                               ;   in Loop: Header=BB0_53 Depth=1
	s_waitcnt lgkmcnt(0)
	s_barrier
	s_and_saveexec_b64 s[62:63], s[54:55]
	s_cbranch_execz .LBB0_87
; %bb.86:                               ;   in Loop: Header=BB0_53 Depth=1
	buffer_load_dword v27, off, s[76:79], 0 offset:20 ; 4-byte Folded Reload
	s_waitcnt vmcnt(0)
	ds_read_b32 v26, v27 offset:4096
	s_waitcnt lgkmcnt(0)
	v_add_u16_sdwa v26, v26, v26 dst_sel:DWORD dst_unused:UNUSED_PAD src0_sel:WORD_1 src1_sel:DWORD
	ds_write_b16 v27, v26 offset:4098
.LBB0_87:                               ;   in Loop: Header=BB0_53 Depth=1
	s_or_b64 exec, exec, s[62:63]
	s_waitcnt lgkmcnt(0)
	s_barrier
	s_and_saveexec_b64 s[62:63], s[56:57]
	s_cbranch_execz .LBB0_89
; %bb.88:                               ;   in Loop: Header=BB0_53 Depth=1
	buffer_load_dword v26, off, s[76:79], 0 ; 4-byte Folded Reload
	buffer_load_dword v28, off, s[76:79], 0 offset:4 ; 4-byte Folded Reload
	s_waitcnt vmcnt(1)
	ds_read_u16 v26, v26 offset:16382
	s_waitcnt vmcnt(0)
	ds_read_u16 v27, v28 offset:16382
	s_waitcnt lgkmcnt(0)
	v_add_u16_e32 v26, v27, v26
	ds_write_b16 v28, v26 offset:16382
.LBB0_89:                               ;   in Loop: Header=BB0_53 Depth=1
	s_or_b64 exec, exec, s[62:63]
	s_waitcnt lgkmcnt(0)
	s_barrier
	s_and_saveexec_b64 s[62:63], s[58:59]
	s_cbranch_execz .LBB0_91
; %bb.90:                               ;   in Loop: Header=BB0_53 Depth=1
	buffer_load_dword v26, off, s[76:79], 0 offset:8 ; 4-byte Folded Reload
	buffer_load_dword v28, off, s[76:79], 0 offset:12 ; 4-byte Folded Reload
	s_waitcnt vmcnt(1)
	ds_read_u16 v26, v26 offset:16382
	s_waitcnt vmcnt(0)
	ds_read_u16 v27, v28 offset:16382
	s_waitcnt lgkmcnt(0)
	v_add_u16_e32 v26, v27, v26
	ds_write_b16 v28, v26 offset:16382
.LBB0_91:                               ;   in Loop: Header=BB0_53 Depth=1
	s_or_b64 exec, exec, s[62:63]
	s_waitcnt lgkmcnt(0)
	s_barrier
	s_and_saveexec_b64 s[62:63], s[60:61]
	s_cbranch_execz .LBB0_93
; %bb.92:                               ;   in Loop: Header=BB0_53 Depth=1
	ds_read_u16 v26, v25 offset:16398
	ds_read_u16 v27, v25 offset:16414
	s_waitcnt lgkmcnt(0)
	v_add_u32_e32 v26, v27, v26
	ds_write_b16 v25, v26 offset:16414
.LBB0_93:                               ;   in Loop: Header=BB0_53 Depth=1
	s_or_b64 exec, exec, s[62:63]
	s_waitcnt lgkmcnt(0)
	s_barrier
	s_barrier
	s_and_saveexec_b64 s[62:63], s[60:61]
	s_cbranch_execz .LBB0_95
; %bb.94:                               ;   in Loop: Header=BB0_53 Depth=1
	ds_read_u16 v26, v25 offset:16414
	s_waitcnt lgkmcnt(0)
	ds_write_b16 v25, v26 offset:17448
	s_waitcnt lgkmcnt(0)
	ds_write_b16 v25, v25 offset:16414
	s_waitcnt lgkmcnt(0)
	ds_read_u16 v26, v25 offset:16414
	ds_read_u16 v27, v25 offset:16398
	s_waitcnt lgkmcnt(1)
	ds_write_b16 v25, v26 offset:16398
	s_waitcnt lgkmcnt(1)
	v_add_u32_e32 v26, v26, v27
	ds_write_b16 v25, v26 offset:16414
.LBB0_95:                               ;   in Loop: Header=BB0_53 Depth=1
	s_or_b64 exec, exec, s[62:63]
	s_waitcnt lgkmcnt(0)
	s_barrier
	s_and_saveexec_b64 s[62:63], s[58:59]
	s_cbranch_execz .LBB0_97
; %bb.96:                               ;   in Loop: Header=BB0_53 Depth=1
	buffer_load_dword v29, off, s[76:79], 0 offset:12 ; 4-byte Folded Reload
	buffer_load_dword v28, off, s[76:79], 0 offset:8 ; 4-byte Folded Reload
	s_waitcnt vmcnt(1)
	ds_read_u16 v26, v29 offset:16382
	s_waitcnt vmcnt(0)
	ds_read_u16 v27, v28 offset:16382
	s_waitcnt lgkmcnt(1)
	ds_write_b16 v28, v26 offset:16382
	s_waitcnt lgkmcnt(1)
	v_add_u16_e32 v26, v26, v27
	ds_write_b16 v29, v26 offset:16382
.LBB0_97:                               ;   in Loop: Header=BB0_53 Depth=1
	s_or_b64 exec, exec, s[62:63]
	s_waitcnt lgkmcnt(0)
	s_barrier
	s_and_saveexec_b64 s[62:63], s[56:57]
	s_cbranch_execz .LBB0_99
; %bb.98:                               ;   in Loop: Header=BB0_53 Depth=1
	buffer_load_dword v29, off, s[76:79], 0 offset:4 ; 4-byte Folded Reload
	buffer_load_dword v28, off, s[76:79], 0 ; 4-byte Folded Reload
	s_waitcnt vmcnt(1)
	ds_read_u16 v26, v29 offset:16382
	s_waitcnt vmcnt(0)
	ds_read_u16 v27, v28 offset:16382
	s_waitcnt lgkmcnt(1)
	ds_write_b16 v28, v26 offset:16382
	s_waitcnt lgkmcnt(1)
	v_add_u16_e32 v26, v26, v27
	ds_write_b16 v29, v26 offset:16382
.LBB0_99:                               ;   in Loop: Header=BB0_53 Depth=1
	s_or_b64 exec, exec, s[62:63]
	s_waitcnt lgkmcnt(0)
	s_barrier
	s_and_saveexec_b64 s[62:63], s[54:55]
	s_cbranch_execz .LBB0_101
; %bb.100:                              ;   in Loop: Header=BB0_53 Depth=1
	buffer_load_dword v28, off, s[76:79], 0 offset:20 ; 4-byte Folded Reload
	s_waitcnt vmcnt(0)
	ds_read_b32 v26, v28 offset:4096
	s_waitcnt lgkmcnt(0)
	v_add_u16_sdwa v27, v26, v26 dst_sel:DWORD dst_unused:UNUSED_PAD src0_sel:WORD_1 src1_sel:DWORD
	v_alignbit_b32 v26, v27, v26, 16
	ds_write_b32 v28, v26 offset:4096
.LBB0_101:                              ;   in Loop: Header=BB0_53 Depth=1
	s_or_b64 exec, exec, s[62:63]
	buffer_load_dword v26, off, s[76:79], 0 offset:244 ; 4-byte Folded Reload
	buffer_load_dword v27, off, s[76:79], 0 offset:248 ; 4-byte Folded Reload
	s_waitcnt vmcnt(0) lgkmcnt(0)
	s_barrier
	s_barrier
	;; [unrolled: 1-line block ×3, first 2 shown]
	s_mov_b32 s64, 0
	s_mov_b32 s62, s64
	;; [unrolled: 1-line block ×4, first 2 shown]
	s_add_i32 s33, s69, 4
	v_lshl_or_b32 v26, v26, 3, v27
	ds_read_u16 v26, v26 offset:16384
	ds_read_u16 v27, v63
	s_waitcnt lgkmcnt(0)
	v_add_u16_e32 v28, 1, v27
	ds_write_b16 v63, v28
	buffer_load_dword v28, off, s[76:79], 0 offset:204 ; 4-byte Folded Reload
	buffer_load_dword v29, off, s[76:79], 0 offset:232 ; 4-byte Folded Reload
	s_waitcnt vmcnt(0)
	v_lshl_or_b32 v28, v28, 3, v29
	ds_read_u16 v28, v28 offset:16384
	ds_read_u16 v29, v55
	s_waitcnt lgkmcnt(0)
	v_add_u16_e32 v30, 1, v29
	ds_write_b16 v55, v30
	buffer_load_dword v30, off, s[76:79], 0 offset:220 ; 4-byte Folded Reload
	buffer_load_dword v31, off, s[76:79], 0 offset:236 ; 4-byte Folded Reload
	s_waitcnt vmcnt(0)
	v_lshl_or_b32 v30, v30, 3, v31
	ds_read_u16 v30, v30 offset:16384
	ds_read_u16 v31, v0
	s_waitcnt lgkmcnt(0)
	v_add_u16_e32 v32, 1, v31
	ds_write_b16 v0, v32
	v_lshlrev_b32_sdwa v0, v53, v27 dst_sel:DWORD dst_unused:UNUSED_PAD src0_sel:DWORD src1_sel:WORD_0
	v_lshl_add_u32 v0, v26, 2, v0
	ds_write_b32 v0, v21
	v_lshlrev_b32_sdwa v0, v53, v29 dst_sel:DWORD dst_unused:UNUSED_PAD src0_sel:DWORD src1_sel:WORD_0
	v_lshl_add_u32 v0, v28, 2, v0
	ds_write_b32 v0, v22
	;; [unrolled: 3-line block ×3, first 2 shown]
	buffer_load_dword v0, off, s[76:79], 0 offset:164 ; 4-byte Folded Reload
	buffer_load_dword v21, off, s[76:79], 0 offset:196 ; 4-byte Folded Reload
	s_waitcnt vmcnt(0)
	v_lshl_or_b32 v0, v0, 3, v21
	ds_read_u16 v0, v0 offset:16384
	ds_read_u16 v21, v49
	s_waitcnt lgkmcnt(0)
	v_lshlrev_b32_sdwa v22, v53, v21 dst_sel:DWORD dst_unused:UNUSED_PAD src0_sel:DWORD src1_sel:WORD_0
	v_lshl_add_u32 v0, v0, 2, v22
	ds_write_b32 v0, v24
	v_add_u16_e32 v0, 1, v21
	ds_write_b16 v49, v0
	buffer_load_dword v0, off, s[76:79], 0 offset:148 ; 4-byte Folded Reload
	buffer_load_dword v21, off, s[76:79], 0 offset:184 ; 4-byte Folded Reload
	s_waitcnt vmcnt(0)
	v_lshl_or_b32 v0, v0, 3, v21
	ds_read_u16 v0, v0 offset:16384
	ds_read_u16 v21, v62
	s_waitcnt lgkmcnt(0)
	v_add_u16_e32 v22, 1, v21
	ds_write_b16 v62, v22
	buffer_load_dword v22, off, s[76:79], 0 offset:168 ; 4-byte Folded Reload
	buffer_load_dword v23, off, s[76:79], 0 offset:200 ; 4-byte Folded Reload
	v_lshlrev_b32_sdwa v21, v53, v21 dst_sel:DWORD dst_unused:UNUSED_PAD src0_sel:DWORD src1_sel:WORD_0
	v_lshl_add_u32 v0, v0, 2, v21
	s_waitcnt vmcnt(0)
	v_lshl_or_b32 v22, v22, 3, v23
	ds_read_u16 v22, v22 offset:16384
	ds_read_u16 v23, v47
	s_waitcnt lgkmcnt(0)
	v_add_u16_e32 v24, 1, v23
	ds_write_b16 v47, v24
	buffer_load_dword v24, off, s[76:79], 0 offset:172 ; 4-byte Folded Reload
	buffer_load_dword v26, off, s[76:79], 0 offset:208 ; 4-byte Folded Reload
	s_waitcnt vmcnt(0)
	v_lshl_or_b32 v24, v24, 3, v26
	ds_read_u16 v24, v24 offset:16384
	ds_read_u16 v26, v60
	ds_write_b32 v0, v17
	v_lshlrev_b32_sdwa v0, v53, v23 dst_sel:DWORD dst_unused:UNUSED_PAD src0_sel:DWORD src1_sel:WORD_0
	v_lshl_add_u32 v0, v22, 2, v0
	ds_write_b32 v0, v18
	s_waitcnt lgkmcnt(2)
	v_lshlrev_b32_sdwa v0, v53, v26 dst_sel:DWORD dst_unused:UNUSED_PAD src0_sel:DWORD src1_sel:WORD_0
	v_add_u16_e32 v27, 1, v26
	v_lshl_add_u32 v0, v24, 2, v0
	ds_write_b16 v60, v27
	ds_write_b32 v0, v19
	buffer_load_dword v0, off, s[76:79], 0 offset:136 ; 4-byte Folded Reload
	buffer_load_dword v17, off, s[76:79], 0 offset:152 ; 4-byte Folded Reload
	s_waitcnt vmcnt(0)
	v_lshl_or_b32 v0, v0, 3, v17
	ds_read_u16 v0, v0 offset:16384
	ds_read_u16 v17, v58
	s_waitcnt lgkmcnt(0)
	v_lshlrev_b32_sdwa v18, v53, v17 dst_sel:DWORD dst_unused:UNUSED_PAD src0_sel:DWORD src1_sel:WORD_0
	v_lshl_add_u32 v0, v0, 2, v18
	ds_write_b32 v0, v20
	v_add_u16_e32 v0, 1, v17
	ds_write_b16 v58, v0
	buffer_load_dword v0, off, s[76:79], 0 offset:132 ; 4-byte Folded Reload
	buffer_load_dword v17, off, s[76:79], 0 offset:156 ; 4-byte Folded Reload
	s_waitcnt vmcnt(0)
	v_lshl_or_b32 v0, v0, 3, v17
	ds_read_u16 v0, v0 offset:16384
	ds_read_u16 v17, v57
	s_waitcnt lgkmcnt(0)
	v_add_u16_e32 v18, 1, v17
	ds_write_b16 v57, v18
	buffer_load_dword v18, off, s[76:79], 0 offset:144 ; 4-byte Folded Reload
	buffer_load_dword v19, off, s[76:79], 0 offset:188 ; 4-byte Folded Reload
	v_lshlrev_b32_sdwa v17, v53, v17 dst_sel:DWORD dst_unused:UNUSED_PAD src0_sel:DWORD src1_sel:WORD_0
	v_lshl_add_u32 v0, v0, 2, v17
	s_waitcnt vmcnt(0)
	v_lshl_or_b32 v18, v18, 3, v19
	ds_read_u16 v18, v18 offset:16384
	ds_read_u16 v19, v50
	s_waitcnt lgkmcnt(0)
	v_add_u16_e32 v20, 1, v19
	ds_write_b16 v50, v20
	buffer_load_dword v20, off, s[76:79], 0 offset:176 ; 4-byte Folded Reload
	buffer_load_dword v21, off, s[76:79], 0 offset:212 ; 4-byte Folded Reload
	v_lshlrev_b32_sdwa v17, v53, v19 dst_sel:DWORD dst_unused:UNUSED_PAD src0_sel:DWORD src1_sel:WORD_0
	v_lshl_add_u32 v17, v18, 2, v17
	s_waitcnt vmcnt(0)
	v_lshl_or_b32 v20, v20, 3, v21
	ds_read_u16 v20, v20 offset:16384
	ds_read_u16 v21, v59
	s_waitcnt lgkmcnt(0)
	v_add_u16_e32 v22, 1, v21
	ds_write_b16 v59, v22
	buffer_load_dword v22, off, s[76:79], 0 offset:192 ; 4-byte Folded Reload
	buffer_load_dword v23, off, s[76:79], 0 offset:228 ; 4-byte Folded Reload
	s_waitcnt vmcnt(0)
	v_lshl_or_b32 v22, v22, 3, v23
	ds_read_u16 v22, v22 offset:16384
	ds_read_u16 v23, v51
	s_waitcnt lgkmcnt(0)
	v_add_u16_e32 v24, 1, v23
	ds_write_b16 v51, v24
	buffer_load_dword v24, off, s[76:79], 0 offset:224 ; 4-byte Folded Reload
	buffer_load_dword v26, off, s[76:79], 0 offset:240 ; 4-byte Folded Reload
	s_waitcnt vmcnt(0)
	v_lshl_or_b32 v24, v24, 3, v26
	ds_read_u16 v24, v24 offset:16384
	ds_read_u16 v26, v54
	ds_write_b32 v0, v13
	s_waitcnt lgkmcnt(1)
	v_add_u16_e32 v27, 1, v26
	ds_write_b16 v54, v27
	buffer_load_dword v0, off, s[76:79], 0 offset:180 ; 4-byte Folded Reload
	buffer_load_dword v13, off, s[76:79], 0 offset:216 ; 4-byte Folded Reload
	s_waitcnt vmcnt(0)
	v_lshl_or_b32 v0, v0, 3, v13
	ds_read_u16 v13, v48
	ds_read_u16 v0, v0 offset:16384
	s_waitcnt lgkmcnt(1)
	v_add_u16_e32 v18, 1, v13
	ds_write_b16 v48, v18
	buffer_load_dword v18, off, s[76:79], 0 offset:140 ; 4-byte Folded Reload
	buffer_load_dword v19, off, s[76:79], 0 offset:160 ; 4-byte Folded Reload
	s_waitcnt vmcnt(0)
	v_lshl_or_b32 v18, v18, 3, v19
	ds_read_u16 v18, v18 offset:16384
	ds_read_u16 v19, v61
	ds_write_b32 v17, v14
	v_lshlrev_b32_sdwa v14, v53, v21 dst_sel:DWORD dst_unused:UNUSED_PAD src0_sel:DWORD src1_sel:WORD_0
	v_lshl_add_u32 v14, v20, 2, v14
	ds_write_b32 v14, v15
	s_waitcnt lgkmcnt(2)
	v_add_u16_e32 v14, 1, v19
	ds_write_b16 v61, v14
	buffer_load_dword v14, off, s[76:79], 0 offset:124 ; 4-byte Folded Reload
	buffer_load_dword v15, off, s[76:79], 0 offset:128 ; 4-byte Folded Reload
	;; [unrolled: 1-line block ×3, first 2 shown]
	v_lshlrev_b32_sdwa v17, v53, v23 dst_sel:DWORD dst_unused:UNUSED_PAD src0_sel:DWORD src1_sel:WORD_0
	v_lshl_add_u32 v17, v22, 2, v17
	ds_write_b32 v17, v16
	v_lshlrev_b32_sdwa v16, v53, v26 dst_sel:DWORD dst_unused:UNUSED_PAD src0_sel:DWORD src1_sel:WORD_0
	v_lshl_add_u32 v16, v24, 2, v16
	s_waitcnt vmcnt(1)
	v_lshl_or_b32 v14, v14, 3, v15
	ds_read_u16 v14, v14 offset:16384
	s_waitcnt vmcnt(0)
	ds_read_u16 v15, v20
	s_waitcnt lgkmcnt(0)
	v_add_u16_e32 v17, 1, v15
	ds_write_b16 v20, v17
	buffer_load_dword v17, off, s[76:79], 0 offset:112 ; 4-byte Folded Reload
	buffer_load_dword v20, off, s[76:79], 0 offset:120 ; 4-byte Folded Reload
	;; [unrolled: 1-line block ×3, first 2 shown]
	ds_write_b32 v16, v1
	v_lshlrev_b32_sdwa v1, v53, v13 dst_sel:DWORD dst_unused:UNUSED_PAD src0_sel:DWORD src1_sel:WORD_0
	v_lshl_add_u32 v0, v0, 2, v1
	s_waitcnt vmcnt(1)
	v_lshl_or_b32 v17, v17, 3, v20
	ds_read_u16 v17, v17 offset:16384
	s_waitcnt vmcnt(0)
	ds_read_u16 v20, v21
	s_waitcnt lgkmcnt(0)
	v_add_u16_e32 v1, 1, v20
	ds_write_b16 v21, v1
	buffer_load_dword v1, off, s[76:79], 0 offset:100 ; 4-byte Folded Reload
	buffer_load_dword v13, off, s[76:79], 0 offset:116 ; 4-byte Folded Reload
	;; [unrolled: 1-line block ×3, first 2 shown]
	ds_write_b32 v0, v2
	v_lshlrev_b32_sdwa v0, v53, v19 dst_sel:DWORD dst_unused:UNUSED_PAD src0_sel:DWORD src1_sel:WORD_0
	v_lshl_add_u32 v0, v18, 2, v0
	ds_write_b32 v0, v3
	v_lshlrev_b32_sdwa v3, v53, v15 dst_sel:DWORD dst_unused:UNUSED_PAD src0_sel:DWORD src1_sel:WORD_0
	v_lshl_add_u32 v3, v14, 2, v3
	s_waitcnt vmcnt(1)
	v_lshl_or_b32 v1, v1, 3, v13
	ds_read_u16 v1, v1 offset:16384
	s_waitcnt vmcnt(0)
	ds_read_u16 v13, v16
	s_waitcnt lgkmcnt(0)
	v_add_u16_e32 v0, 1, v13
	ds_write_b16 v16, v0
	buffer_load_dword v0, off, s[76:79], 0 offset:88 ; 4-byte Folded Reload
	buffer_load_dword v2, off, s[76:79], 0 offset:108 ; 4-byte Folded Reload
	buffer_load_dword v16, off, s[76:79], 0 offset:68 ; 4-byte Folded Reload
	ds_write_b32 v3, v4
	v_lshlrev_b32_sdwa v3, v53, v20 dst_sel:DWORD dst_unused:UNUSED_PAD src0_sel:DWORD src1_sel:WORD_0
	v_lshl_add_u32 v3, v17, 2, v3
	s_waitcnt vmcnt(1)
	v_lshl_or_b32 v0, v0, 3, v2
	ds_read_u16 v0, v0 offset:16384
	s_waitcnt vmcnt(0)
	ds_read_u16 v2, v16
	s_waitcnt lgkmcnt(0)
	v_add_u16_e32 v4, 1, v2
	ds_write_b16 v16, v4
	buffer_load_dword v4, off, s[76:79], 0 offset:76 ; 4-byte Folded Reload
	buffer_load_dword v14, off, s[76:79], 0 offset:96 ; 4-byte Folded Reload
	buffer_load_dword v15, off, s[76:79], 0 offset:56 ; 4-byte Folded Reload
	;; [unrolled: 14-line block ×3, first 2 shown]
	ds_write_b32 v1, v6
	v_lshlrev_b32_sdwa v1, v53, v2 dst_sel:DWORD dst_unused:UNUSED_PAD src0_sel:DWORD src1_sel:WORD_0
	v_lshl_add_u32 v0, v0, 2, v1
	ds_write_b32 v0, v7
	v_lshlrev_b32_sdwa v2, v53, v14 dst_sel:DWORD dst_unused:UNUSED_PAD src0_sel:DWORD src1_sel:WORD_0
	v_lshl_add_u32 v2, v4, 2, v2
	s_waitcnt vmcnt(1)
	v_lshl_or_b32 v3, v3, 3, v5
	ds_read_u16 v3, v3 offset:16384
	s_waitcnt vmcnt(0)
	ds_read_u16 v5, v13
	s_waitcnt lgkmcnt(0)
	v_add_u16_e32 v0, 1, v5
	ds_write_b16 v13, v0
	buffer_load_dword v0, off, s[76:79], 0 offset:52 ; 4-byte Folded Reload
	buffer_load_dword v1, off, s[76:79], 0 offset:72 ; 4-byte Folded Reload
	;; [unrolled: 1-line block ×3, first 2 shown]
	ds_write_b32 v2, v8
	v_lshlrev_b32_sdwa v2, v53, v5 dst_sel:DWORD dst_unused:UNUSED_PAD src0_sel:DWORD src1_sel:WORD_0
	v_lshl_add_u32 v2, v3, 2, v2
	s_waitcnt vmcnt(1)
	v_lshl_or_b32 v0, v0, 3, v1
	ds_read_u16 v0, v0 offset:16384
	s_waitcnt vmcnt(0)
	ds_read_u16 v1, v6
	s_waitcnt lgkmcnt(0)
	v_add_u16_e32 v4, 1, v1
	ds_write_b16 v6, v4
	buffer_load_dword v4, off, s[76:79], 0 offset:40 ; 4-byte Folded Reload
	buffer_load_dword v5, off, s[76:79], 0 offset:60 ; 4-byte Folded Reload
	;; [unrolled: 1-line block ×3, first 2 shown]
	v_lshlrev_b32_sdwa v1, v53, v1 dst_sel:DWORD dst_unused:UNUSED_PAD src0_sel:DWORD src1_sel:WORD_0
	v_lshl_add_u32 v0, v0, 2, v1
	ds_write_b32 v2, v9
	s_waitcnt vmcnt(1)
	v_lshl_or_b32 v4, v4, 3, v5
	ds_read_u16 v4, v4 offset:16384
	s_waitcnt vmcnt(0)
	ds_read_u16 v5, v6
	s_waitcnt lgkmcnt(0)
	v_add_u16_e32 v1, 1, v5
	ds_write_b16 v6, v1
	buffer_load_dword v1, off, s[76:79], 0 offset:32 ; 4-byte Folded Reload
	buffer_load_dword v2, off, s[76:79], 0 offset:48 ; 4-byte Folded Reload
	;; [unrolled: 1-line block ×3, first 2 shown]
	ds_write_b32 v0, v10
	v_lshlrev_b32_sdwa v0, v53, v5 dst_sel:DWORD dst_unused:UNUSED_PAD src0_sel:DWORD src1_sel:WORD_0
	v_lshl_add_u32 v0, v4, 2, v0
	ds_write_b32 v0, v11
	s_waitcnt vmcnt(1)
	v_lshl_or_b32 v1, v1, 3, v2
	ds_read_u16 v1, v1 offset:16384
	s_waitcnt vmcnt(0)
	ds_read_u16 v2, v3
	s_waitcnt lgkmcnt(0)
	v_add_u16_e32 v0, 1, v2
	ds_write_b16 v3, v0
	v_lshlrev_b32_sdwa v0, v53, v2 dst_sel:DWORD dst_unused:UNUSED_PAD src0_sel:DWORD src1_sel:WORD_0
	v_lshl_add_u32 v0, v1, 2, v0
	ds_write_b32 v0, v12
	s_waitcnt lgkmcnt(0)
	s_barrier
	buffer_load_dword v6, off, s[76:79], 0 offset:16 ; 4-byte Folded Reload
	v_mov_b32_e32 v0, s64
	v_mov_b32_e32 v2, s62
	;; [unrolled: 1-line block ×4, first 2 shown]
	s_waitcnt vmcnt(0)
	ds_read_b128 v[20:23], v6
	ds_read_b128 v[12:15], v6 offset:16
	ds_write2_b64 v34, v[0:1], v[2:3] offset1:1
	ds_write2_b64 v34, v[0:1], v[2:3] offset0:2 offset1:3
	s_waitcnt lgkmcnt(3)
	v_ashrrev_i32_e32 v0, s33, v20
	v_bfe_u32 v1, v0, 2, 2
	v_and_b32_e32 v0, 3, v0
	buffer_store_dword v1, off, s[76:79], 0 offset:252 ; 4-byte Folded Spill
	v_lshlrev_b32_e32 v1, 3, v1
	v_lshlrev_b32_e32 v0, 1, v0
	v_add3_u32 v62, v34, v1, v0
	buffer_store_dword v0, off, s[76:79], 0 offset:256 ; 4-byte Folded Spill
	ds_read_u16 v0, v62
	s_waitcnt lgkmcnt(0)
	v_add_u16_e32 v0, 1, v0
	ds_write_b16 v62, v0
	v_ashrrev_i32_e32 v0, s33, v21
	v_bfe_u32 v1, v0, 2, 2
	v_and_b32_e32 v0, 3, v0
	buffer_store_dword v1, off, s[76:79], 0 offset:208 ; 4-byte Folded Spill
	v_lshlrev_b32_e32 v1, 3, v1
	v_lshlrev_b32_e32 v0, 1, v0
	v_add3_u32 v51, v34, v1, v0
	buffer_store_dword v0, off, s[76:79], 0 offset:240 ; 4-byte Folded Spill
	ds_read_u16 v0, v51
	s_waitcnt lgkmcnt(0)
	v_add_u16_e32 v0, 1, v0
	ds_write_b16 v51, v0
	;; [unrolled: 12-line block ×7, first 2 shown]
	v_ashrrev_i32_e32 v0, s33, v15
	v_bfe_u32 v1, v0, 2, 2
	v_and_b32_e32 v0, 3, v0
	buffer_store_dword v1, off, s[76:79], 0 offset:144 ; 4-byte Folded Spill
	v_lshlrev_b32_e32 v1, 3, v1
	v_lshlrev_b32_e32 v0, 1, v0
	buffer_store_dword v0, off, s[76:79], 0 offset:168 ; 4-byte Folded Spill
	v_add3_u32 v5, v34, v1, v0
	ds_read_u16 v4, v5
	ds_read_b128 v[8:11], v6 offset:32
	ds_read_b128 v[0:3], v6 offset:48
	buffer_store_dword v5, off, s[76:79], 0 offset:136 ; 4-byte Folded Spill
	s_waitcnt lgkmcnt(2)
	v_add_u16_e32 v4, 1, v4
	ds_write_b16 v5, v4
	s_waitcnt lgkmcnt(2)
	v_ashrrev_i32_e32 v4, s33, v8
	v_bfe_u32 v5, v4, 2, 2
	v_and_b32_e32 v4, 3, v4
	buffer_store_dword v5, off, s[76:79], 0 offset:148 ; 4-byte Folded Spill
	v_lshlrev_b32_e32 v5, 3, v5
	v_lshlrev_b32_e32 v4, 1, v4
	v_add3_u32 v52, v34, v5, v4
	buffer_store_dword v4, off, s[76:79], 0 offset:188 ; 4-byte Folded Spill
	ds_read_u16 v4, v52
	s_waitcnt lgkmcnt(0)
	v_add_u16_e32 v4, 1, v4
	ds_write_b16 v52, v4
	v_ashrrev_i32_e32 v4, s33, v9
	v_bfe_u32 v5, v4, 2, 2
	v_and_b32_e32 v4, 3, v4
	buffer_store_dword v5, off, s[76:79], 0 offset:164 ; 4-byte Folded Spill
	v_lshlrev_b32_e32 v5, 3, v5
	v_lshlrev_b32_e32 v4, 1, v4
	v_add3_u32 v63, v34, v5, v4
	buffer_store_dword v4, off, s[76:79], 0 offset:204 ; 4-byte Folded Spill
	ds_read_u16 v4, v63
	s_waitcnt lgkmcnt(0)
	v_add_u16_e32 v4, 1, v4
	ds_write_b16 v63, v4
	;; [unrolled: 12-line block ×5, first 2 shown]
	v_ashrrev_i32_e32 v4, s33, v1
	v_bfe_u32 v5, v4, 2, 2
	v_and_b32_e32 v4, 3, v4
	v_lshlrev_b32_e32 v7, 1, v4
	v_lshlrev_b32_e32 v4, 3, v5
	v_add3_u32 v29, v34, v4, v7
	ds_read_u16 v4, v29
	buffer_store_dword v5, off, s[76:79], 0 offset:192 ; 4-byte Folded Spill
	buffer_store_dword v7, off, s[76:79], 0 offset:236 ; 4-byte Folded Spill
	s_waitcnt lgkmcnt(0)
	v_add_u16_e32 v4, 1, v4
	ds_write_b16 v29, v4
	v_ashrrev_i32_e32 v4, s33, v2
	v_bfe_u32 v5, v4, 2, 2
	v_and_b32_e32 v4, 3, v4
	v_lshlrev_b32_e32 v7, 1, v4
	v_lshlrev_b32_e32 v4, 3, v5
	buffer_store_dword v5, off, s[76:79], 0 offset:140 ; 4-byte Folded Spill
	v_add3_u32 v5, v34, v4, v7
	ds_read_u16 v4, v5
	buffer_store_dword v5, off, s[76:79], 0 offset:132 ; 4-byte Folded Spill
	buffer_store_dword v7, off, s[76:79], 0 offset:152 ; 4-byte Folded Spill
	s_waitcnt lgkmcnt(0)
	v_add_u16_e32 v4, 1, v4
	ds_write_b16 v5, v4
	v_ashrrev_i32_e32 v4, s33, v3
	v_bfe_u32 v5, v4, 2, 2
	v_and_b32_e32 v4, 3, v4
	v_lshlrev_b32_e32 v7, 1, v4
	v_lshlrev_b32_e32 v4, 3, v5
	buffer_store_dword v5, off, s[76:79], 0 offset:108 ; 4-byte Folded Spill
	v_add3_u32 v5, v34, v4, v7
	ds_read_u16 v4, v5
	buffer_store_dword v7, off, s[76:79], 0 offset:124 ; 4-byte Folded Spill
	buffer_store_dword v5, off, s[76:79], 0 offset:84 ; 4-byte Folded Spill
	s_waitcnt lgkmcnt(0)
	v_add_u16_e32 v4, 1, v4
	ds_write_b16 v5, v4
	ds_read_b128 v[16:19], v6 offset:64
	ds_read_b128 v[4:7], v6 offset:80
	s_waitcnt lgkmcnt(1)
	v_ashrrev_i32_e32 v26, s33, v16
	v_bfe_u32 v31, v26, 2, 2
	v_and_b32_e32 v26, 3, v26
	v_lshlrev_b32_e32 v32, 1, v26
	v_lshlrev_b32_e32 v26, 3, v31
	buffer_store_dword v31, off, s[76:79], 0 offset:116 ; 4-byte Folded Spill
	v_add3_u32 v31, v34, v26, v32
	ds_read_u16 v26, v31
	buffer_store_dword v31, off, s[76:79], 0 offset:96 ; 4-byte Folded Spill
	buffer_store_dword v32, off, s[76:79], 0 offset:128 ; 4-byte Folded Spill
	s_waitcnt lgkmcnt(0)
	v_add_u16_e32 v26, 1, v26
	ds_write_b16 v31, v26
	v_ashrrev_i32_e32 v26, s33, v17
	v_bfe_u32 v31, v26, 2, 2
	v_and_b32_e32 v26, 3, v26
	v_lshlrev_b32_e32 v32, 1, v26
	v_lshlrev_b32_e32 v26, 3, v31
	buffer_store_dword v31, off, s[76:79], 0 offset:104 ; 4-byte Folded Spill
	v_add3_u32 v31, v34, v26, v32
	ds_read_u16 v26, v31
	buffer_store_dword v31, off, s[76:79], 0 offset:80 ; 4-byte Folded Spill
	buffer_store_dword v32, off, s[76:79], 0 offset:120 ; 4-byte Folded Spill
	s_waitcnt lgkmcnt(0)
	v_add_u16_e32 v26, 1, v26
	ds_write_b16 v31, v26
	;; [unrolled: 13-line block ×8, first 2 shown]
	s_waitcnt vmcnt(0) lgkmcnt(0)
	s_barrier
	s_branch .LBB0_103
.LBB0_102:                              ;   in Loop: Header=BB0_103 Depth=2
	s_or_b64 exec, exec, s[62:63]
	s_add_i32 s64, s64, 8
	s_cmp_eq_u32 s64, 32
	s_cbranch_scc1 .LBB0_133
.LBB0_103:                              ;   Parent Loop BB0_53 Depth=1
                                        ; =>  This Inner Loop Header: Depth=2
	v_add_u32_e32 v56, s64, v34
	ds_read_b64 v[31:32], v56
	s_waitcnt lgkmcnt(0)
	ds_write_b64 v36, v[31:32]
	s_waitcnt lgkmcnt(0)
	s_barrier
	s_and_saveexec_b64 s[72:73], s[48:49]
	s_cbranch_execz .LBB0_105
; %bb.104:                              ;   in Loop: Header=BB0_103 Depth=2
	v_add_u32_e32 v26, v36, v35
	ds_read_b128 v[47:50], v26
	s_waitcnt lgkmcnt(0)
	v_add_co_u32_e64 v31, s[62:63], v49, v47
	v_addc_co_u32_e64 v32, s[62:63], v50, v48, s[62:63]
	ds_write_b64 v26, v[31:32] offset:8
.LBB0_105:                              ;   in Loop: Header=BB0_103 Depth=2
	s_or_b64 exec, exec, s[72:73]
	s_waitcnt lgkmcnt(0)
	s_barrier
	s_and_saveexec_b64 s[72:73], s[50:51]
	s_cbranch_execz .LBB0_107
; %bb.106:                              ;   in Loop: Header=BB0_103 Depth=2
	ds_read_b64 v[31:32], v38 offset:16408
	ds_read_b64 v[47:48], v37 offset:16408
	s_waitcnt lgkmcnt(0)
	v_add_co_u32_e64 v31, s[62:63], v47, v31
	v_addc_co_u32_e64 v32, s[62:63], v48, v32, s[62:63]
	ds_write_b64 v37, v[31:32] offset:16408
.LBB0_107:                              ;   in Loop: Header=BB0_103 Depth=2
	s_or_b64 exec, exec, s[72:73]
	s_waitcnt lgkmcnt(0)
	s_barrier
	s_and_saveexec_b64 s[72:73], s[52:53]
	s_cbranch_execz .LBB0_109
; %bb.108:                              ;   in Loop: Header=BB0_103 Depth=2
	ds_read_b64 v[31:32], v40 offset:16408
	ds_read_b64 v[47:48], v39 offset:16408
	s_waitcnt lgkmcnt(0)
	v_add_co_u32_e64 v31, s[62:63], v47, v31
	v_addc_co_u32_e64 v32, s[62:63], v48, v32, s[62:63]
	ds_write_b64 v39, v[31:32] offset:16408
.LBB0_109:                              ;   in Loop: Header=BB0_103 Depth=2
	s_or_b64 exec, exec, s[72:73]
	s_waitcnt lgkmcnt(0)
	s_barrier
	s_and_saveexec_b64 s[72:73], s[54:55]
	s_cbranch_execz .LBB0_111
; %bb.110:                              ;   in Loop: Header=BB0_103 Depth=2
	ds_read_b64 v[31:32], v42 offset:16408
	ds_read_b64 v[47:48], v41 offset:16408
	s_waitcnt lgkmcnt(0)
	v_add_co_u32_e64 v31, s[62:63], v47, v31
	v_addc_co_u32_e64 v32, s[62:63], v48, v32, s[62:63]
	ds_write_b64 v41, v[31:32] offset:16408
.LBB0_111:                              ;   in Loop: Header=BB0_103 Depth=2
	s_or_b64 exec, exec, s[72:73]
	s_waitcnt lgkmcnt(0)
	s_barrier
	s_and_saveexec_b64 s[72:73], s[56:57]
	s_cbranch_execz .LBB0_113
; %bb.112:                              ;   in Loop: Header=BB0_103 Depth=2
	ds_read_b64 v[31:32], v44 offset:16408
	ds_read_b64 v[47:48], v43 offset:16408
	s_waitcnt lgkmcnt(0)
	v_add_co_u32_e64 v31, s[62:63], v47, v31
	v_addc_co_u32_e64 v32, s[62:63], v48, v32, s[62:63]
	ds_write_b64 v43, v[31:32] offset:16408
.LBB0_113:                              ;   in Loop: Header=BB0_103 Depth=2
	s_or_b64 exec, exec, s[72:73]
	s_waitcnt lgkmcnt(0)
	s_barrier
	s_and_saveexec_b64 s[72:73], s[58:59]
	s_cbranch_execz .LBB0_115
; %bb.114:                              ;   in Loop: Header=BB0_103 Depth=2
	ds_read_b64 v[31:32], v46 offset:16408
	ds_read_b64 v[47:48], v45 offset:16408
	s_waitcnt lgkmcnt(0)
	v_add_co_u32_e64 v31, s[62:63], v47, v31
	v_addc_co_u32_e64 v32, s[62:63], v48, v32, s[62:63]
	ds_write_b64 v45, v[31:32] offset:16408
.LBB0_115:                              ;   in Loop: Header=BB0_103 Depth=2
	s_or_b64 exec, exec, s[72:73]
	s_waitcnt lgkmcnt(0)
	s_barrier
	s_and_saveexec_b64 s[72:73], s[60:61]
	s_cbranch_execz .LBB0_117
; %bb.116:                              ;   in Loop: Header=BB0_103 Depth=2
	v_add_u32_e64 v26, 24, 0
	ds_read2st64_b64 v[47:50], v26 offset0:33 offset1:34
	s_waitcnt lgkmcnt(0)
	v_add_co_u32_e64 v31, s[62:63], v49, v47
	v_addc_co_u32_e64 v32, s[62:63], v50, v48, s[62:63]
	ds_write_b64 v25, v[31:32] offset:17432
.LBB0_117:                              ;   in Loop: Header=BB0_103 Depth=2
	s_or_b64 exec, exec, s[72:73]
	s_waitcnt lgkmcnt(0)
	s_barrier
	s_barrier
	s_and_saveexec_b64 s[72:73], s[60:61]
	s_cbranch_execz .LBB0_119
; %bb.118:                              ;   in Loop: Header=BB0_103 Depth=2
	ds_read_b64 v[31:32], v25 offset:17432
	v_mov_b32_e32 v26, v25
	s_waitcnt lgkmcnt(0)
	ds_write_b64 v25, v[31:32] offset:17440
	s_waitcnt lgkmcnt(0)
	ds_write_b64 v25, v[25:26] offset:17432
	v_add_u32_e64 v26, 24, 0
	s_waitcnt lgkmcnt(0)
	ds_read2st64_b64 v[47:50], v26 offset0:33 offset1:34
	s_waitcnt lgkmcnt(0)
	v_add_co_u32_e64 v31, s[62:63], v49, v47
	v_addc_co_u32_e64 v32, s[62:63], v50, v48, s[62:63]
	ds_write2st64_b64 v26, v[49:50], v[31:32] offset0:33 offset1:34
.LBB0_119:                              ;   in Loop: Header=BB0_103 Depth=2
	s_or_b64 exec, exec, s[72:73]
	s_waitcnt lgkmcnt(0)
	s_barrier
	s_and_saveexec_b64 s[72:73], s[58:59]
	s_cbranch_execz .LBB0_121
; %bb.120:                              ;   in Loop: Header=BB0_103 Depth=2
	ds_read_b64 v[31:32], v45 offset:16408
	ds_read_b64 v[47:48], v46 offset:16408
	s_waitcnt lgkmcnt(1)
	ds_write_b64 v46, v[31:32] offset:16408
	s_waitcnt lgkmcnt(1)
	v_add_co_u32_e64 v31, s[62:63], v31, v47
	v_addc_co_u32_e64 v32, s[62:63], v32, v48, s[62:63]
	ds_write_b64 v45, v[31:32] offset:16408
.LBB0_121:                              ;   in Loop: Header=BB0_103 Depth=2
	s_or_b64 exec, exec, s[72:73]
	s_waitcnt lgkmcnt(0)
	s_barrier
	s_and_saveexec_b64 s[72:73], s[56:57]
	s_cbranch_execz .LBB0_123
; %bb.122:                              ;   in Loop: Header=BB0_103 Depth=2
	ds_read_b64 v[31:32], v43 offset:16408
	ds_read_b64 v[47:48], v44 offset:16408
	s_waitcnt lgkmcnt(1)
	ds_write_b64 v44, v[31:32] offset:16408
	s_waitcnt lgkmcnt(1)
	v_add_co_u32_e64 v31, s[62:63], v31, v47
	v_addc_co_u32_e64 v32, s[62:63], v32, v48, s[62:63]
	ds_write_b64 v43, v[31:32] offset:16408
.LBB0_123:                              ;   in Loop: Header=BB0_103 Depth=2
	;; [unrolled: 15-line block ×5, first 2 shown]
	s_or_b64 exec, exec, s[72:73]
	s_waitcnt lgkmcnt(0)
	s_barrier
	s_and_saveexec_b64 s[72:73], s[48:49]
	s_cbranch_execz .LBB0_131
; %bb.130:                              ;   in Loop: Header=BB0_103 Depth=2
	v_add_u32_e32 v26, v36, v35
	ds_read_b128 v[47:50], v26
	s_waitcnt lgkmcnt(0)
	v_add_co_u32_e64 v59, s[62:63], v49, v47
	v_addc_co_u32_e64 v60, s[62:63], v50, v48, s[62:63]
	v_mov_b32_e32 v57, v49
	v_mov_b32_e32 v58, v50
	ds_write_b128 v26, v[57:60]
.LBB0_131:                              ;   in Loop: Header=BB0_103 Depth=2
	s_or_b64 exec, exec, s[72:73]
	s_waitcnt lgkmcnt(0)
	s_barrier
	s_barrier
	ds_read_b64 v[31:32], v25 offset:17440
	s_waitcnt lgkmcnt(0)
	s_barrier
	ds_read_b64 v[47:48], v36
	s_waitcnt lgkmcnt(0)
	ds_write_b64 v56, v[47:48]
	s_and_saveexec_b64 s[62:63], s[60:61]
	s_cbranch_execz .LBB0_102
; %bb.132:                              ;   in Loop: Header=BB0_103 Depth=2
	v_mov_b32_e32 v26, s64
	ds_write_b64 v26, v[31:32] offset:16384
	s_branch .LBB0_102
.LBB0_133:                              ;   in Loop: Header=BB0_53 Depth=1
	s_waitcnt lgkmcnt(0)
	s_barrier
	s_and_saveexec_b64 s[62:63], s[54:55]
	s_cbranch_execz .LBB0_135
; %bb.134:                              ;   in Loop: Header=BB0_53 Depth=1
	buffer_load_dword v31, off, s[76:79], 0 offset:20 ; 4-byte Folded Reload
	s_waitcnt vmcnt(0)
	ds_read_b32 v26, v31 offset:4096
	s_waitcnt lgkmcnt(0)
	v_add_u16_sdwa v26, v26, v26 dst_sel:DWORD dst_unused:UNUSED_PAD src0_sel:WORD_1 src1_sel:DWORD
	ds_write_b16 v31, v26 offset:4098
.LBB0_135:                              ;   in Loop: Header=BB0_53 Depth=1
	s_or_b64 exec, exec, s[62:63]
	s_waitcnt lgkmcnt(0)
	s_barrier
	s_and_saveexec_b64 s[62:63], s[56:57]
	s_cbranch_execz .LBB0_137
; %bb.136:                              ;   in Loop: Header=BB0_53 Depth=1
	buffer_load_dword v26, off, s[76:79], 0 ; 4-byte Folded Reload
	buffer_load_dword v32, off, s[76:79], 0 offset:4 ; 4-byte Folded Reload
	s_waitcnt vmcnt(1)
	ds_read_u16 v26, v26 offset:16382
	s_waitcnt vmcnt(0)
	ds_read_u16 v31, v32 offset:16382
	s_waitcnt lgkmcnt(0)
	v_add_u16_e32 v26, v31, v26
	ds_write_b16 v32, v26 offset:16382
.LBB0_137:                              ;   in Loop: Header=BB0_53 Depth=1
	s_or_b64 exec, exec, s[62:63]
	s_waitcnt lgkmcnt(0)
	s_barrier
	s_and_saveexec_b64 s[62:63], s[58:59]
	s_cbranch_execz .LBB0_139
; %bb.138:                              ;   in Loop: Header=BB0_53 Depth=1
	buffer_load_dword v26, off, s[76:79], 0 offset:8 ; 4-byte Folded Reload
	buffer_load_dword v32, off, s[76:79], 0 offset:12 ; 4-byte Folded Reload
	s_waitcnt vmcnt(1)
	ds_read_u16 v26, v26 offset:16382
	s_waitcnt vmcnt(0)
	ds_read_u16 v31, v32 offset:16382
	s_waitcnt lgkmcnt(0)
	v_add_u16_e32 v26, v31, v26
	ds_write_b16 v32, v26 offset:16382
.LBB0_139:                              ;   in Loop: Header=BB0_53 Depth=1
	s_or_b64 exec, exec, s[62:63]
	s_waitcnt lgkmcnt(0)
	s_barrier
	s_and_saveexec_b64 s[62:63], s[60:61]
	s_cbranch_execz .LBB0_141
; %bb.140:                              ;   in Loop: Header=BB0_53 Depth=1
	ds_read_u16 v26, v25 offset:16398
	ds_read_u16 v31, v25 offset:16414
	s_waitcnt lgkmcnt(0)
	v_add_u32_e32 v26, v31, v26
	ds_write_b16 v25, v26 offset:16414
.LBB0_141:                              ;   in Loop: Header=BB0_53 Depth=1
	s_or_b64 exec, exec, s[62:63]
	s_waitcnt lgkmcnt(0)
	s_barrier
	s_barrier
	s_and_saveexec_b64 s[62:63], s[60:61]
	s_cbranch_execz .LBB0_143
; %bb.142:                              ;   in Loop: Header=BB0_53 Depth=1
	ds_read_u16 v26, v25 offset:16414
	s_waitcnt lgkmcnt(0)
	ds_write_b16 v25, v26 offset:17448
	s_waitcnt lgkmcnt(0)
	ds_write_b16 v25, v25 offset:16414
	s_waitcnt lgkmcnt(0)
	ds_read_u16 v26, v25 offset:16414
	ds_read_u16 v31, v25 offset:16398
	s_waitcnt lgkmcnt(1)
	ds_write_b16 v25, v26 offset:16398
	s_waitcnt lgkmcnt(1)
	v_add_u32_e32 v26, v26, v31
	ds_write_b16 v25, v26 offset:16414
.LBB0_143:                              ;   in Loop: Header=BB0_53 Depth=1
	s_or_b64 exec, exec, s[62:63]
	s_waitcnt lgkmcnt(0)
	s_barrier
	s_and_saveexec_b64 s[62:63], s[58:59]
	s_cbranch_execz .LBB0_145
; %bb.144:                              ;   in Loop: Header=BB0_53 Depth=1
	buffer_load_dword v47, off, s[76:79], 0 offset:12 ; 4-byte Folded Reload
	buffer_load_dword v32, off, s[76:79], 0 offset:8 ; 4-byte Folded Reload
	s_waitcnt vmcnt(1)
	ds_read_u16 v26, v47 offset:16382
	s_waitcnt vmcnt(0)
	ds_read_u16 v31, v32 offset:16382
	s_waitcnt lgkmcnt(1)
	ds_write_b16 v32, v26 offset:16382
	s_waitcnt lgkmcnt(1)
	v_add_u16_e32 v26, v26, v31
	ds_write_b16 v47, v26 offset:16382
.LBB0_145:                              ;   in Loop: Header=BB0_53 Depth=1
	s_or_b64 exec, exec, s[62:63]
	s_waitcnt lgkmcnt(0)
	s_barrier
	s_and_saveexec_b64 s[62:63], s[56:57]
	s_cbranch_execz .LBB0_147
; %bb.146:                              ;   in Loop: Header=BB0_53 Depth=1
	buffer_load_dword v47, off, s[76:79], 0 offset:4 ; 4-byte Folded Reload
	buffer_load_dword v32, off, s[76:79], 0 ; 4-byte Folded Reload
	s_waitcnt vmcnt(1)
	ds_read_u16 v26, v47 offset:16382
	s_waitcnt vmcnt(0)
	ds_read_u16 v31, v32 offset:16382
	s_waitcnt lgkmcnt(1)
	ds_write_b16 v32, v26 offset:16382
	s_waitcnt lgkmcnt(1)
	v_add_u16_e32 v26, v26, v31
	ds_write_b16 v47, v26 offset:16382
.LBB0_147:                              ;   in Loop: Header=BB0_53 Depth=1
	s_or_b64 exec, exec, s[62:63]
	s_waitcnt lgkmcnt(0)
	s_barrier
	s_and_saveexec_b64 s[62:63], s[54:55]
	s_cbranch_execz .LBB0_52
; %bb.148:                              ;   in Loop: Header=BB0_53 Depth=1
	buffer_load_dword v32, off, s[76:79], 0 offset:20 ; 4-byte Folded Reload
	s_waitcnt vmcnt(0)
	ds_read_b32 v26, v32 offset:4096
	s_waitcnt lgkmcnt(0)
	v_add_u16_sdwa v31, v26, v26 dst_sel:DWORD dst_unused:UNUSED_PAD src0_sel:WORD_1 src1_sel:DWORD
	v_alignbit_b32 v26, v31, v26, 16
	ds_write_b32 v32, v26 offset:4096
	s_branch .LBB0_52
.LBB0_149:
	s_and_saveexec_b64 s[48:49], vcc
	s_cbranch_execnz .LBB0_173
; %bb.150:
	s_or_b64 exec, exec, s[48:49]
	s_and_saveexec_b64 s[48:49], s[0:1]
	s_cbranch_execnz .LBB0_174
.LBB0_151:
	s_or_b64 exec, exec, s[48:49]
	s_and_saveexec_b64 s[0:1], s[2:3]
	s_cbranch_execnz .LBB0_175
.LBB0_152:
	s_or_b64 exec, exec, s[0:1]
	s_and_saveexec_b64 s[0:1], s[4:5]
	s_cbranch_execnz .LBB0_176
.LBB0_153:
	s_or_b64 exec, exec, s[0:1]
	s_and_saveexec_b64 s[0:1], s[6:7]
	s_cbranch_execnz .LBB0_177
.LBB0_154:
	s_or_b64 exec, exec, s[0:1]
	s_and_saveexec_b64 s[0:1], s[8:9]
	s_cbranch_execnz .LBB0_178
.LBB0_155:
	s_or_b64 exec, exec, s[0:1]
	s_and_saveexec_b64 s[0:1], s[10:11]
	s_cbranch_execnz .LBB0_179
.LBB0_156:
	s_or_b64 exec, exec, s[0:1]
	s_and_saveexec_b64 s[0:1], s[12:13]
	s_cbranch_execnz .LBB0_180
.LBB0_157:
	s_or_b64 exec, exec, s[0:1]
	s_and_saveexec_b64 s[0:1], s[14:15]
	s_cbranch_execnz .LBB0_181
.LBB0_158:
	s_or_b64 exec, exec, s[0:1]
	s_and_saveexec_b64 s[0:1], s[16:17]
	s_cbranch_execnz .LBB0_182
.LBB0_159:
	s_or_b64 exec, exec, s[0:1]
	s_and_saveexec_b64 s[0:1], s[18:19]
	s_cbranch_execnz .LBB0_183
.LBB0_160:
	s_or_b64 exec, exec, s[0:1]
	s_and_saveexec_b64 s[0:1], s[20:21]
	s_cbranch_execnz .LBB0_184
.LBB0_161:
	s_or_b64 exec, exec, s[0:1]
	s_and_saveexec_b64 s[0:1], s[22:23]
	s_cbranch_execnz .LBB0_185
.LBB0_162:
	s_or_b64 exec, exec, s[0:1]
	s_and_saveexec_b64 s[0:1], s[24:25]
	s_cbranch_execnz .LBB0_186
.LBB0_163:
	s_or_b64 exec, exec, s[0:1]
	s_and_saveexec_b64 s[0:1], s[26:27]
	s_cbranch_execnz .LBB0_187
.LBB0_164:
	s_or_b64 exec, exec, s[0:1]
	s_and_saveexec_b64 s[0:1], s[28:29]
	s_cbranch_execnz .LBB0_188
.LBB0_165:
	s_or_b64 exec, exec, s[0:1]
	s_and_saveexec_b64 s[0:1], s[30:31]
	s_cbranch_execnz .LBB0_189
.LBB0_166:
	s_or_b64 exec, exec, s[0:1]
	s_and_saveexec_b64 s[0:1], s[34:35]
	s_cbranch_execnz .LBB0_190
.LBB0_167:
	s_or_b64 exec, exec, s[0:1]
	s_and_saveexec_b64 s[0:1], s[36:37]
	s_cbranch_execnz .LBB0_191
.LBB0_168:
	s_or_b64 exec, exec, s[0:1]
	s_and_saveexec_b64 s[0:1], s[38:39]
	s_cbranch_execnz .LBB0_192
.LBB0_169:
	s_or_b64 exec, exec, s[0:1]
	s_and_saveexec_b64 s[0:1], s[40:41]
	s_cbranch_execnz .LBB0_193
.LBB0_170:
	s_or_b64 exec, exec, s[0:1]
	s_and_saveexec_b64 s[0:1], s[42:43]
	s_cbranch_execnz .LBB0_194
.LBB0_171:
	s_or_b64 exec, exec, s[0:1]
	s_and_saveexec_b64 s[0:1], s[44:45]
	s_cbranch_execnz .LBB0_195
.LBB0_172:
	s_or_b64 exec, exec, s[0:1]
	s_and_saveexec_b64 s[0:1], s[46:47]
	s_cbranch_execz .LBB0_1
	s_branch .LBB0_196
.LBB0_173:
	buffer_load_dword v0, off, s[76:79], 0 offset:276 ; 4-byte Folded Reload
	s_waitcnt vmcnt(0) lgkmcnt(5)
	global_store_dword v0, v21, s[66:67]
	s_or_b64 exec, exec, s[48:49]
	s_and_saveexec_b64 s[48:49], s[0:1]
	s_cbranch_execz .LBB0_151
.LBB0_174:
	buffer_load_dword v0, off, s[76:79], 0 offset:276 ; 4-byte Folded Reload
	s_waitcnt vmcnt(0) lgkmcnt(5)
	global_store_dword v0, v22, s[66:67] offset:4
	s_or_b64 exec, exec, s[48:49]
	s_and_saveexec_b64 s[0:1], s[2:3]
	s_cbranch_execz .LBB0_152
.LBB0_175:
	buffer_load_dword v0, off, s[76:79], 0 offset:276 ; 4-byte Folded Reload
	s_waitcnt vmcnt(0) lgkmcnt(5)
	global_store_dword v0, v23, s[66:67] offset:8
	s_or_b64 exec, exec, s[0:1]
	s_and_saveexec_b64 s[0:1], s[4:5]
	s_cbranch_execz .LBB0_153
.LBB0_176:
	buffer_load_dword v0, off, s[76:79], 0 offset:276 ; 4-byte Folded Reload
	s_waitcnt vmcnt(0) lgkmcnt(5)
	global_store_dword v0, v24, s[66:67] offset:12
	s_or_b64 exec, exec, s[0:1]
	s_and_saveexec_b64 s[0:1], s[6:7]
	s_cbranch_execz .LBB0_154
.LBB0_177:
	buffer_load_dword v0, off, s[76:79], 0 offset:276 ; 4-byte Folded Reload
	s_waitcnt vmcnt(0) lgkmcnt(4)
	global_store_dword v0, v17, s[66:67] offset:16
	s_or_b64 exec, exec, s[0:1]
	s_and_saveexec_b64 s[0:1], s[8:9]
	s_cbranch_execz .LBB0_155
.LBB0_178:
	buffer_load_dword v0, off, s[76:79], 0 offset:276 ; 4-byte Folded Reload
	s_waitcnt vmcnt(0) lgkmcnt(4)
	global_store_dword v0, v18, s[66:67] offset:20
	s_or_b64 exec, exec, s[0:1]
	s_and_saveexec_b64 s[0:1], s[10:11]
	s_cbranch_execz .LBB0_156
.LBB0_179:
	buffer_load_dword v0, off, s[76:79], 0 offset:276 ; 4-byte Folded Reload
	s_waitcnt vmcnt(0) lgkmcnt(4)
	global_store_dword v0, v19, s[66:67] offset:24
	s_or_b64 exec, exec, s[0:1]
	s_and_saveexec_b64 s[0:1], s[12:13]
	s_cbranch_execz .LBB0_157
.LBB0_180:
	buffer_load_dword v0, off, s[76:79], 0 offset:276 ; 4-byte Folded Reload
	s_waitcnt vmcnt(0) lgkmcnt(4)
	global_store_dword v0, v20, s[66:67] offset:28
	s_or_b64 exec, exec, s[0:1]
	s_and_saveexec_b64 s[0:1], s[14:15]
	s_cbranch_execz .LBB0_158
.LBB0_181:
	buffer_load_dword v0, off, s[76:79], 0 offset:276 ; 4-byte Folded Reload
	s_waitcnt vmcnt(0) lgkmcnt(3)
	global_store_dword v0, v13, s[66:67] offset:32
	s_or_b64 exec, exec, s[0:1]
	s_and_saveexec_b64 s[0:1], s[16:17]
	s_cbranch_execz .LBB0_159
.LBB0_182:
	buffer_load_dword v0, off, s[76:79], 0 offset:276 ; 4-byte Folded Reload
	s_waitcnt vmcnt(0) lgkmcnt(3)
	global_store_dword v0, v14, s[66:67] offset:36
	s_or_b64 exec, exec, s[0:1]
	s_and_saveexec_b64 s[0:1], s[18:19]
	s_cbranch_execz .LBB0_160
.LBB0_183:
	buffer_load_dword v0, off, s[76:79], 0 offset:276 ; 4-byte Folded Reload
	s_waitcnt vmcnt(0) lgkmcnt(3)
	global_store_dword v0, v15, s[66:67] offset:40
	s_or_b64 exec, exec, s[0:1]
	s_and_saveexec_b64 s[0:1], s[20:21]
	s_cbranch_execz .LBB0_161
.LBB0_184:
	buffer_load_dword v0, off, s[76:79], 0 offset:276 ; 4-byte Folded Reload
	s_waitcnt vmcnt(0) lgkmcnt(3)
	global_store_dword v0, v16, s[66:67] offset:44
	s_or_b64 exec, exec, s[0:1]
	s_and_saveexec_b64 s[0:1], s[22:23]
	s_cbranch_execz .LBB0_162
.LBB0_185:
	buffer_load_dword v0, off, s[76:79], 0 offset:276 ; 4-byte Folded Reload
	s_waitcnt vmcnt(0) lgkmcnt(2)
	global_store_dword v0, v1, s[66:67] offset:48
	s_or_b64 exec, exec, s[0:1]
	s_and_saveexec_b64 s[0:1], s[24:25]
	s_cbranch_execz .LBB0_163
.LBB0_186:
	buffer_load_dword v0, off, s[76:79], 0 offset:276 ; 4-byte Folded Reload
	s_waitcnt vmcnt(0) lgkmcnt(2)
	global_store_dword v0, v2, s[66:67] offset:52
	s_or_b64 exec, exec, s[0:1]
	s_and_saveexec_b64 s[0:1], s[26:27]
	s_cbranch_execz .LBB0_164
.LBB0_187:
	buffer_load_dword v0, off, s[76:79], 0 offset:276 ; 4-byte Folded Reload
	s_waitcnt vmcnt(0) lgkmcnt(2)
	global_store_dword v0, v3, s[66:67] offset:56
	s_or_b64 exec, exec, s[0:1]
	s_and_saveexec_b64 s[0:1], s[28:29]
	s_cbranch_execz .LBB0_165
.LBB0_188:
	buffer_load_dword v0, off, s[76:79], 0 offset:276 ; 4-byte Folded Reload
	s_waitcnt vmcnt(0) lgkmcnt(2)
	global_store_dword v0, v4, s[66:67] offset:60
	s_or_b64 exec, exec, s[0:1]
	s_and_saveexec_b64 s[0:1], s[30:31]
	s_cbranch_execz .LBB0_166
.LBB0_189:
	buffer_load_dword v0, off, s[76:79], 0 offset:276 ; 4-byte Folded Reload
	s_waitcnt vmcnt(0) lgkmcnt(1)
	global_store_dword v0, v5, s[66:67] offset:64
	s_or_b64 exec, exec, s[0:1]
	s_and_saveexec_b64 s[0:1], s[34:35]
	s_cbranch_execz .LBB0_167
.LBB0_190:
	buffer_load_dword v0, off, s[76:79], 0 offset:276 ; 4-byte Folded Reload
	s_waitcnt vmcnt(0) lgkmcnt(1)
	global_store_dword v0, v6, s[66:67] offset:68
	s_or_b64 exec, exec, s[0:1]
	s_and_saveexec_b64 s[0:1], s[36:37]
	s_cbranch_execz .LBB0_168
.LBB0_191:
	buffer_load_dword v0, off, s[76:79], 0 offset:276 ; 4-byte Folded Reload
	s_waitcnt vmcnt(0) lgkmcnt(1)
	global_store_dword v0, v7, s[66:67] offset:72
	s_or_b64 exec, exec, s[0:1]
	s_and_saveexec_b64 s[0:1], s[38:39]
	s_cbranch_execz .LBB0_169
.LBB0_192:
	buffer_load_dword v0, off, s[76:79], 0 offset:276 ; 4-byte Folded Reload
	s_waitcnt vmcnt(0) lgkmcnt(1)
	global_store_dword v0, v8, s[66:67] offset:76
	s_or_b64 exec, exec, s[0:1]
	s_and_saveexec_b64 s[0:1], s[40:41]
	s_cbranch_execz .LBB0_170
.LBB0_193:
	buffer_load_dword v0, off, s[76:79], 0 offset:276 ; 4-byte Folded Reload
	s_waitcnt vmcnt(0) lgkmcnt(0)
	global_store_dword v0, v9, s[66:67] offset:80
	s_or_b64 exec, exec, s[0:1]
	s_and_saveexec_b64 s[0:1], s[42:43]
	s_cbranch_execz .LBB0_171
.LBB0_194:
	buffer_load_dword v0, off, s[76:79], 0 offset:276 ; 4-byte Folded Reload
	s_waitcnt vmcnt(0) lgkmcnt(0)
	global_store_dword v0, v10, s[66:67] offset:84
	s_or_b64 exec, exec, s[0:1]
	s_and_saveexec_b64 s[0:1], s[44:45]
	s_cbranch_execz .LBB0_172
.LBB0_195:
	buffer_load_dword v0, off, s[76:79], 0 offset:276 ; 4-byte Folded Reload
	s_waitcnt vmcnt(0) lgkmcnt(0)
	global_store_dword v0, v11, s[66:67] offset:88
	s_or_b64 exec, exec, s[0:1]
	s_and_saveexec_b64 s[0:1], s[46:47]
	s_cbranch_execz .LBB0_1
.LBB0_196:
	buffer_load_dword v0, off, s[76:79], 0 offset:276 ; 4-byte Folded Reload
	s_waitcnt vmcnt(0) lgkmcnt(0)
	global_store_dword v0, v12, s[66:67] offset:92
	s_endpgm
	.section	.rodata,"a",@progbits
	.p2align	6, 0x0
	.amdhsa_kernel SortSinglePassKernel
		.amdhsa_group_segment_fixed_size 17456
		.amdhsa_private_segment_fixed_size 284
		.amdhsa_kernarg_size 28
		.amdhsa_user_sgpr_count 6
		.amdhsa_user_sgpr_private_segment_buffer 1
		.amdhsa_user_sgpr_dispatch_ptr 0
		.amdhsa_user_sgpr_queue_ptr 0
		.amdhsa_user_sgpr_kernarg_segment_ptr 1
		.amdhsa_user_sgpr_dispatch_id 0
		.amdhsa_user_sgpr_flat_scratch_init 0
		.amdhsa_user_sgpr_private_segment_size 0
		.amdhsa_uses_dynamic_stack 0
		.amdhsa_system_sgpr_private_segment_wavefront_offset 1
		.amdhsa_system_sgpr_workgroup_id_x 1
		.amdhsa_system_sgpr_workgroup_id_y 0
		.amdhsa_system_sgpr_workgroup_id_z 0
		.amdhsa_system_sgpr_workgroup_info 0
		.amdhsa_system_vgpr_workitem_id 0
		.amdhsa_next_free_vgpr 64
		.amdhsa_next_free_sgpr 80
		.amdhsa_reserve_vcc 1
		.amdhsa_reserve_flat_scratch 0
		.amdhsa_float_round_mode_32 0
		.amdhsa_float_round_mode_16_64 0
		.amdhsa_float_denorm_mode_32 3
		.amdhsa_float_denorm_mode_16_64 3
		.amdhsa_dx10_clamp 1
		.amdhsa_ieee_mode 1
		.amdhsa_fp16_overflow 0
		.amdhsa_exception_fp_ieee_invalid_op 0
		.amdhsa_exception_fp_denorm_src 0
		.amdhsa_exception_fp_ieee_div_zero 0
		.amdhsa_exception_fp_ieee_overflow 0
		.amdhsa_exception_fp_ieee_underflow 0
		.amdhsa_exception_fp_ieee_inexact 0
		.amdhsa_exception_int_div_zero 0
	.end_amdhsa_kernel
	.text
.Lfunc_end0:
	.size	SortSinglePassKernel, .Lfunc_end0-SortSinglePassKernel
                                        ; -- End function
	.set SortSinglePassKernel.num_vgpr, 64
	.set SortSinglePassKernel.num_agpr, 0
	.set SortSinglePassKernel.numbered_sgpr, 80
	.set SortSinglePassKernel.num_named_barrier, 0
	.set SortSinglePassKernel.private_seg_size, 284
	.set SortSinglePassKernel.uses_vcc, 1
	.set SortSinglePassKernel.uses_flat_scratch, 0
	.set SortSinglePassKernel.has_dyn_sized_stack, 0
	.set SortSinglePassKernel.has_recursion, 0
	.set SortSinglePassKernel.has_indirect_call, 0
	.section	.AMDGPU.csdata,"",@progbits
; Kernel info:
; codeLenInByte = 14232
; TotalNumSgprs: 84
; NumVgprs: 64
; ScratchSize: 284
; MemoryBound: 0
; FloatMode: 240
; IeeeMode: 1
; LDSByteSize: 17456 bytes/workgroup (compile time only)
; SGPRBlocks: 10
; VGPRBlocks: 15
; NumSGPRsForWavesPerEU: 84
; NumVGPRsForWavesPerEU: 64
; Occupancy: 4
; WaveLimiterHint : 0
; COMPUTE_PGM_RSRC2:SCRATCH_EN: 1
; COMPUTE_PGM_RSRC2:USER_SGPR: 6
; COMPUTE_PGM_RSRC2:TRAP_HANDLER: 0
; COMPUTE_PGM_RSRC2:TGID_X_EN: 1
; COMPUTE_PGM_RSRC2:TGID_Y_EN: 0
; COMPUTE_PGM_RSRC2:TGID_Z_EN: 0
; COMPUTE_PGM_RSRC2:TIDIG_COMP_CNT: 0
	.text
	.protected	SortSinglePassKVKernel  ; -- Begin function SortSinglePassKVKernel
	.globl	SortSinglePassKVKernel
	.p2align	8
	.type	SortSinglePassKVKernel,@function
SortSinglePassKVKernel:                 ; @SortSinglePassKVKernel
; %bb.0:
	s_mov_b64 s[78:79], s[2:3]
	s_mov_b64 s[76:77], s[0:1]
	s_add_u32 s76, s76, s7
	s_addc_u32 s77, s77, 0
	s_cmp_lg_u32 s6, 0
	s_cbranch_scc0 .LBB1_2
.LBB1_1:
	s_endpgm
.LBB1_2:
	s_load_dwordx4 s[68:71], s[4:5], 0x20
	s_load_dwordx8 s[60:67], s[4:5], 0x0
	v_mul_u32_u24_e32 v5, 24, v0
	v_mov_b32_e32 v10, -1
	v_lshlrev_b32_e32 v7, 2, v5
	s_waitcnt lgkmcnt(0)
	v_cmp_gt_i32_e32 vcc, s68, v5
	v_mov_b32_e32 v9, -1
	v_mov_b32_e32 v53, -1
	s_and_saveexec_b64 s[0:1], vcc
	s_cbranch_execz .LBB1_4
; %bb.3:
	global_load_dword v9, v7, s[60:61]
	global_load_dword v53, v7, s[62:63]
.LBB1_4:
	s_or_b64 exec, exec, s[0:1]
	v_add_u32_e32 v1, 0x3000, v7
	buffer_store_dword v1, off, s[76:79], 0 ; 4-byte Folded Spill
	v_or_b32_e32 v1, 1, v5
	v_cmp_gt_i32_e64 s[0:1], s68, v1
	v_mov_b32_e32 v54, -1
	s_waitcnt vmcnt(1)
	ds_write2st64_b32 v7, v9, v53 offset1:48
	s_and_saveexec_b64 s[2:3], s[0:1]
	s_cbranch_execz .LBB1_6
; %bb.5:
	global_load_dword v10, v7, s[60:61] offset:4
	global_load_dword v54, v7, s[62:63] offset:4
.LBB1_6:
	s_or_b64 exec, exec, s[2:3]
	v_add_u32_e32 v1, 0x3000, v7
	s_waitcnt vmcnt(0)
	ds_write_b32 v1, v54 offset:4
	v_or_b32_e32 v1, 2, v5
	v_cmp_gt_i32_e64 s[2:3], s68, v1
	v_mov_b32_e32 v12, -1
	v_mov_b32_e32 v11, -1
	v_mov_b32_e32 v55, -1
	ds_write_b32 v7, v10 offset:4
	s_and_saveexec_b64 s[4:5], s[2:3]
	s_cbranch_execz .LBB1_8
; %bb.7:
	global_load_dword v11, v7, s[60:61] offset:8
	global_load_dword v55, v7, s[62:63] offset:8
.LBB1_8:
	s_or_b64 exec, exec, s[4:5]
	v_add_u32_e32 v1, 0x3000, v7
	s_waitcnt vmcnt(0)
	ds_write_b32 v1, v55 offset:8
	v_or_b32_e32 v1, 3, v5
	v_cmp_gt_i32_e64 s[4:5], s68, v1
	v_mov_b32_e32 v56, -1
	ds_write_b32 v7, v11 offset:8
	s_and_saveexec_b64 s[6:7], s[4:5]
	s_cbranch_execz .LBB1_10
; %bb.9:
	global_load_dword v12, v7, s[60:61] offset:12
	global_load_dword v56, v7, s[62:63] offset:12
.LBB1_10:
	s_or_b64 exec, exec, s[6:7]
	v_add_u32_e32 v1, 0x3000, v7
	s_waitcnt vmcnt(0)
	ds_write_b32 v1, v56 offset:12
	v_or_b32_e32 v1, 4, v5
	v_cmp_gt_i32_e64 s[6:7], s68, v1
	v_mov_b32_e32 v14, -1
	v_mov_b32_e32 v13, -1
	v_mov_b32_e32 v34, -1
	ds_write_b32 v7, v12 offset:12
	s_and_saveexec_b64 s[8:9], s[6:7]
	s_cbranch_execz .LBB1_12
; %bb.11:
	global_load_dword v13, v7, s[60:61] offset:16
	global_load_dword v34, v7, s[62:63] offset:16
.LBB1_12:
	s_or_b64 exec, exec, s[8:9]
	v_add_u32_e32 v1, 0x3000, v7
	s_waitcnt vmcnt(0)
	ds_write_b32 v1, v34 offset:16
	v_or_b32_e32 v1, 5, v5
	v_cmp_gt_i32_e64 s[8:9], s68, v1
	v_mov_b32_e32 v35, -1
	ds_write_b32 v7, v13 offset:16
	;; [unrolled: 30-line block ×3, first 2 shown]
	s_and_saveexec_b64 s[14:15], s[12:13]
	s_cbranch_execz .LBB1_18
; %bb.17:
	global_load_dword v16, v7, s[60:61] offset:28
	global_load_dword v37, v7, s[62:63] offset:28
.LBB1_18:
	s_or_b64 exec, exec, s[14:15]
	v_add_u32_e32 v1, 0x3000, v7
	s_waitcnt vmcnt(0)
	ds_write_b32 v1, v37 offset:28
	v_add_u32_e32 v1, 8, v5
	v_cmp_gt_i32_e64 s[14:15], s68, v1
	v_mov_b32_e32 v18, -1
	v_mov_b32_e32 v17, -1
	v_mov_b32_e32 v57, -1
	ds_write_b32 v7, v16 offset:28
	s_and_saveexec_b64 s[16:17], s[14:15]
	s_cbranch_execz .LBB1_20
; %bb.19:
	global_load_dword v17, v7, s[60:61] offset:32
	global_load_dword v57, v7, s[62:63] offset:32
.LBB1_20:
	s_or_b64 exec, exec, s[16:17]
	v_add_u32_e32 v1, 0x3000, v7
	s_waitcnt vmcnt(0)
	ds_write_b32 v1, v57 offset:32
	v_add_u32_e32 v1, 9, v5
	v_cmp_gt_i32_e64 s[16:17], s68, v1
	v_mov_b32_e32 v58, -1
	ds_write_b32 v7, v17 offset:32
	s_and_saveexec_b64 s[18:19], s[16:17]
	s_cbranch_execz .LBB1_22
; %bb.21:
	global_load_dword v18, v7, s[60:61] offset:36
	global_load_dword v58, v7, s[62:63] offset:36
.LBB1_22:
	s_or_b64 exec, exec, s[18:19]
	v_add_u32_e32 v1, 0x3000, v7
	s_waitcnt vmcnt(0)
	ds_write_b32 v1, v58 offset:36
	v_add_u32_e32 v1, 10, v5
	v_cmp_gt_i32_e64 s[18:19], s68, v1
	v_mov_b32_e32 v20, -1
	v_mov_b32_e32 v19, -1
	v_mov_b32_e32 v59, -1
	ds_write_b32 v7, v18 offset:36
	s_and_saveexec_b64 s[20:21], s[18:19]
	s_cbranch_execz .LBB1_24
; %bb.23:
	global_load_dword v19, v7, s[60:61] offset:40
	global_load_dword v59, v7, s[62:63] offset:40
.LBB1_24:
	s_or_b64 exec, exec, s[20:21]
	v_add_u32_e32 v1, 0x3000, v7
	s_waitcnt vmcnt(0)
	ds_write_b32 v1, v59 offset:40
	v_add_u32_e32 v1, 11, v5
	v_cmp_gt_i32_e64 s[20:21], s68, v1
	v_mov_b32_e32 v60, -1
	ds_write_b32 v7, v19 offset:40
	;; [unrolled: 30-line block ×7, first 2 shown]
	s_and_saveexec_b64 s[44:45], s[42:43]
	s_cbranch_execz .LBB1_46
; %bb.45:
	global_load_dword v43, v7, s[60:61] offset:84
	global_load_dword v31, v7, s[62:63] offset:84
.LBB1_46:
	s_or_b64 exec, exec, s[44:45]
	v_add_u32_e32 v6, 0x3000, v7
	s_waitcnt vmcnt(0)
	ds_write_b32 v6, v31 offset:84
	v_add_u32_e32 v6, 22, v5
	v_cmp_gt_i32_e64 s[44:45], s68, v6
	v_mov_b32_e32 v45, -1
	v_mov_b32_e32 v44, -1
	;; [unrolled: 1-line block ×3, first 2 shown]
	ds_write_b32 v7, v43 offset:84
	s_and_saveexec_b64 s[46:47], s[44:45]
	s_cbranch_execz .LBB1_48
; %bb.47:
	global_load_dword v44, v7, s[60:61] offset:88
	global_load_dword v32, v7, s[62:63] offset:88
.LBB1_48:
	s_or_b64 exec, exec, s[46:47]
	v_add_u32_e32 v5, 23, v5
	v_add_u32_e32 v6, 0x3000, v7
	v_cmp_gt_i32_e64 s[46:47], s68, v5
	v_mov_b32_e32 v33, -1
	s_waitcnt vmcnt(1)
	ds_write_b32 v7, v44 offset:88
	s_waitcnt vmcnt(0)
	ds_write_b32 v6, v32 offset:88
	s_and_saveexec_b64 s[48:49], s[46:47]
	s_cbranch_execz .LBB1_50
; %bb.49:
	global_load_dword v45, v7, s[60:61] offset:92
	global_load_dword v33, v7, s[62:63] offset:92
.LBB1_50:
	s_or_b64 exec, exec, s[48:49]
	v_add_u32_e32 v5, 0x3000, v7
	s_cmp_lt_i32 s69, s70
	s_waitcnt vmcnt(1)
	ds_write_b32 v7, v45 offset:92
	s_waitcnt vmcnt(0)
	ds_write_b32 v5, v33 offset:92
	s_waitcnt lgkmcnt(0)
	s_barrier
	s_cbranch_scc1 .LBB1_75
; %bb.51:
	s_and_saveexec_b64 s[48:49], vcc
	s_cbranch_execnz .LBB1_175
.LBB1_52:
	s_or_b64 exec, exec, s[48:49]
	s_and_saveexec_b64 s[48:49], s[0:1]
	s_cbranch_execnz .LBB1_176
.LBB1_53:
	s_or_b64 exec, exec, s[48:49]
	s_and_saveexec_b64 s[0:1], s[2:3]
	s_cbranch_execnz .LBB1_177
.LBB1_54:
	s_or_b64 exec, exec, s[0:1]
	s_and_saveexec_b64 s[0:1], s[4:5]
	s_cbranch_execnz .LBB1_178
.LBB1_55:
	s_or_b64 exec, exec, s[0:1]
	s_and_saveexec_b64 s[0:1], s[6:7]
	s_cbranch_execnz .LBB1_179
.LBB1_56:
	s_or_b64 exec, exec, s[0:1]
	s_and_saveexec_b64 s[0:1], s[8:9]
	s_cbranch_execnz .LBB1_180
.LBB1_57:
	s_or_b64 exec, exec, s[0:1]
	s_and_saveexec_b64 s[0:1], s[10:11]
	s_cbranch_execnz .LBB1_181
.LBB1_58:
	s_or_b64 exec, exec, s[0:1]
	s_and_saveexec_b64 s[0:1], s[12:13]
	s_cbranch_execnz .LBB1_182
.LBB1_59:
	s_or_b64 exec, exec, s[0:1]
	s_and_saveexec_b64 s[0:1], s[14:15]
	s_cbranch_execnz .LBB1_183
.LBB1_60:
	s_or_b64 exec, exec, s[0:1]
	s_and_saveexec_b64 s[0:1], s[16:17]
	s_cbranch_execnz .LBB1_184
.LBB1_61:
	s_or_b64 exec, exec, s[0:1]
	s_and_saveexec_b64 s[0:1], s[18:19]
	s_cbranch_execnz .LBB1_185
.LBB1_62:
	s_or_b64 exec, exec, s[0:1]
	s_and_saveexec_b64 s[0:1], s[20:21]
	s_cbranch_execnz .LBB1_186
.LBB1_63:
	s_or_b64 exec, exec, s[0:1]
	s_and_saveexec_b64 s[0:1], s[22:23]
	s_cbranch_execnz .LBB1_187
.LBB1_64:
	s_or_b64 exec, exec, s[0:1]
	s_and_saveexec_b64 s[0:1], s[24:25]
	s_cbranch_execnz .LBB1_188
.LBB1_65:
	s_or_b64 exec, exec, s[0:1]
	s_and_saveexec_b64 s[0:1], s[26:27]
	s_cbranch_execnz .LBB1_189
.LBB1_66:
	s_or_b64 exec, exec, s[0:1]
	s_and_saveexec_b64 s[0:1], s[28:29]
	s_cbranch_execnz .LBB1_190
.LBB1_67:
	s_or_b64 exec, exec, s[0:1]
	s_and_saveexec_b64 s[0:1], s[30:31]
	s_cbranch_execnz .LBB1_191
.LBB1_68:
	s_or_b64 exec, exec, s[0:1]
	s_and_saveexec_b64 s[0:1], s[34:35]
	s_cbranch_execnz .LBB1_192
.LBB1_69:
	s_or_b64 exec, exec, s[0:1]
	s_and_saveexec_b64 s[0:1], s[36:37]
	s_cbranch_execnz .LBB1_193
.LBB1_70:
	s_or_b64 exec, exec, s[0:1]
	s_and_saveexec_b64 s[0:1], s[38:39]
	s_cbranch_execnz .LBB1_194
.LBB1_71:
	s_or_b64 exec, exec, s[0:1]
	s_and_saveexec_b64 s[0:1], s[40:41]
	s_cbranch_execnz .LBB1_195
.LBB1_72:
	s_or_b64 exec, exec, s[0:1]
	s_and_saveexec_b64 s[0:1], s[42:43]
	s_cbranch_execnz .LBB1_196
.LBB1_73:
	s_or_b64 exec, exec, s[0:1]
	s_and_saveexec_b64 s[0:1], s[44:45]
	s_cbranch_execnz .LBB1_197
.LBB1_74:
	s_or_b64 exec, exec, s[0:1]
	s_and_saveexec_b64 s[0:1], s[46:47]
	s_cbranch_execz .LBB1_1
	s_branch .LBB1_198
.LBB1_75:
	buffer_store_dword v30, off, s[76:79], 0 offset:36 ; 4-byte Folded Spill
	s_nop 0
	buffer_store_dword v31, off, s[76:79], 0 offset:40 ; 4-byte Folded Spill
	buffer_store_dword v32, off, s[76:79], 0 offset:44 ; 4-byte Folded Spill
	buffer_store_dword v33, off, s[76:79], 0 offset:48 ; 4-byte Folded Spill
	buffer_store_dword v49, off, s[76:79], 0 offset:20 ; 4-byte Folded Spill
	s_nop 0
	buffer_store_dword v50, off, s[76:79], 0 offset:24 ; 4-byte Folded Spill
	buffer_store_dword v51, off, s[76:79], 0 offset:28 ; 4-byte Folded Spill
	buffer_store_dword v52, off, s[76:79], 0 offset:32 ; 4-byte Folded Spill
	;; [unrolled: 5-line block ×6, first 2 shown]
	buffer_store_dword v7, off, s[76:79], 0 offset:52 ; 4-byte Folded Spill
	v_mov_b32_e32 v5, 0x6000
	v_lshl_add_u32 v59, v0, 5, v5
	v_lshlrev_b32_e32 v5, 1, v0
	v_or_b32_e32 v6, 1, v5
	v_add_u32_e32 v5, 2, v5
	v_lshlrev_b32_e32 v7, 2, v6
	s_mov_b32 s62, 0
	v_lshlrev_b32_e32 v62, 4, v5
	v_lshlrev_b32_e32 v63, 4, v6
	;; [unrolled: 1-line block ×10, first 2 shown]
	buffer_store_dword v7, off, s[76:79], 0 offset:56 ; 4-byte Folded Spill
	v_lshlrev_b32_e32 v7, 2, v5
	v_lshlrev_b32_e32 v6, 3, v6
	;; [unrolled: 1-line block ×3, first 2 shown]
	buffer_store_dword v6, off, s[76:79], 0 offset:64 ; 4-byte Folded Spill
	buffer_store_dword v5, off, s[76:79], 0 offset:68 ; 4-byte Folded Spill
	s_mov_b32 s63, s62
	v_mov_b32_e32 v5, s62
	v_mov_b32_e32 v6, s63
	buffer_store_dword v7, off, s[76:79], 0 offset:60 ; 4-byte Folded Spill
	s_mov_b32 s72, s62
	buffer_store_dword v5, off, s[76:79], 0 offset:428 ; 4-byte Folded Spill
	s_nop 0
	buffer_store_dword v6, off, s[76:79], 0 offset:432 ; 4-byte Folded Spill
	v_lshlrev_b32_e32 v60, 3, v0
	v_cmp_gt_u32_e64 s[48:49], 64, v0
	v_cmp_gt_u32_e64 s[50:51], 32, v0
	;; [unrolled: 1-line block ×6, first 2 shown]
	v_cmp_eq_u32_e64 s[60:61], 0, v0
	v_mul_i32_i24_e32 v0, 0xffffffe4, v0
	s_mov_b32 s73, s62
	v_mov_b32_e32 v5, s72
	v_add_u32_e32 v61, 0x7020, v60
	v_mov_b32_e32 v49, 0
	v_mov_b32_e32 v6, s73
	v_add_u32_e32 v0, v59, v0
	buffer_store_dword v5, off, s[76:79], 0 offset:436 ; 4-byte Folded Spill
	s_nop 0
	buffer_store_dword v6, off, s[76:79], 0 offset:440 ; 4-byte Folded Spill
	buffer_store_dword v0, off, s[76:79], 0 offset:72 ; 4-byte Folded Spill
.LBB1_76:                               ; =>This Loop Header: Depth=1
                                        ;     Child Loop BB1_78 Depth 2
                                        ;     Child Loop BB1_126 Depth 2
	buffer_load_dword v5, off, s[76:79], 0 offset:428 ; 4-byte Folded Reload
	s_nop 0
	buffer_load_dword v6, off, s[76:79], 0 offset:432 ; 4-byte Folded Reload
	buffer_load_dword v7, off, s[76:79], 0 offset:436 ; 4-byte Folded Reload
	;; [unrolled: 1-line block ×3, first 2 shown]
	v_ashrrev_i32_e32 v0, s69, v9
	s_mov_b32 s33, 0
	s_waitcnt vmcnt(0)
	ds_write2_b64 v59, v[5:6], v[7:8] offset1:1
	ds_write2_b64 v59, v[5:6], v[7:8] offset0:2 offset1:3
	v_bfe_u32 v5, v0, 2, 2
	v_and_b32_e32 v0, 3, v0
	buffer_store_dword v5, off, s[76:79], 0 offset:372 ; 4-byte Folded Spill
	v_lshlrev_b32_e32 v5, 3, v5
	v_lshlrev_b32_e32 v0, 1, v0
	v_add3_u32 v7, v59, v5, v0
	buffer_store_dword v0, off, s[76:79], 0 offset:376 ; 4-byte Folded Spill
	ds_read_u16 v0, v7
	s_waitcnt lgkmcnt(0)
	v_add_u16_e32 v0, 1, v0
	ds_write_b16 v7, v0
	v_ashrrev_i32_e32 v0, s69, v10
	v_bfe_u32 v5, v0, 2, 2
	v_and_b32_e32 v0, 3, v0
	buffer_store_dword v5, off, s[76:79], 0 offset:340 ; 4-byte Folded Spill
	v_lshlrev_b32_e32 v5, 3, v5
	v_lshlrev_b32_e32 v0, 1, v0
	v_add3_u32 v8, v59, v5, v0
	buffer_store_dword v0, off, s[76:79], 0 offset:364 ; 4-byte Folded Spill
	ds_read_u16 v0, v8
	s_waitcnt lgkmcnt(0)
	v_add_u16_e32 v0, 1, v0
	ds_write_b16 v8, v0
	v_ashrrev_i32_e32 v0, s69, v11
	v_bfe_u32 v5, v0, 2, 2
	v_and_b32_e32 v0, 3, v0
	buffer_store_dword v5, off, s[76:79], 0 offset:356 ; 4-byte Folded Spill
	v_lshlrev_b32_e32 v5, 3, v5
	v_lshlrev_b32_e32 v0, 1, v0
	buffer_store_dword v0, off, s[76:79], 0 offset:368 ; 4-byte Folded Spill
	v_add3_u32 v0, v59, v5, v0
	ds_read_u16 v5, v0
	s_waitcnt lgkmcnt(0)
	v_add_u16_e32 v5, 1, v5
	ds_write_b16 v0, v5
	v_ashrrev_i32_e32 v5, s69, v12
	v_bfe_u32 v6, v5, 2, 2
	v_and_b32_e32 v5, 3, v5
	buffer_store_dword v6, off, s[76:79], 0 offset:268 ; 4-byte Folded Spill
	v_lshlrev_b32_e32 v6, 3, v6
	v_lshlrev_b32_e32 v5, 1, v5
	v_add3_u32 v6, v59, v6, v5
	buffer_store_dword v5, off, s[76:79], 0 offset:328 ; 4-byte Folded Spill
	ds_read_u16 v5, v6
	buffer_store_dword v6, off, s[76:79], 0 offset:224 ; 4-byte Folded Spill
	s_waitcnt lgkmcnt(0)
	v_add_u16_e32 v5, 1, v5
	ds_write_b16 v6, v5
	v_ashrrev_i32_e32 v5, s69, v13
	v_bfe_u32 v6, v5, 2, 2
	v_and_b32_e32 v5, 3, v5
	buffer_store_dword v6, off, s[76:79], 0 offset:252 ; 4-byte Folded Spill
	v_lshlrev_b32_e32 v6, 3, v6
	v_lshlrev_b32_e32 v5, 1, v5
	v_add3_u32 v36, v59, v6, v5
	buffer_store_dword v5, off, s[76:79], 0 offset:312 ; 4-byte Folded Spill
	ds_read_u16 v5, v36
	s_waitcnt lgkmcnt(0)
	v_add_u16_e32 v5, 1, v5
	ds_write_b16 v36, v5
	v_ashrrev_i32_e32 v5, s69, v14
	v_bfe_u32 v6, v5, 2, 2
	v_and_b32_e32 v5, 3, v5
	buffer_store_dword v6, off, s[76:79], 0 offset:272 ; 4-byte Folded Spill
	v_lshlrev_b32_e32 v6, 3, v6
	v_lshlrev_b32_e32 v5, 1, v5
	v_add3_u32 v35, v59, v6, v5
	buffer_store_dword v5, off, s[76:79], 0 offset:332 ; 4-byte Folded Spill
	ds_read_u16 v5, v35
	;; [unrolled: 12-line block ×4, first 2 shown]
	buffer_store_dword v6, off, s[76:79], 0 offset:216 ; 4-byte Folded Spill
	s_waitcnt lgkmcnt(0)
	v_add_u16_e32 v5, 1, v5
	ds_write_b16 v6, v5
	v_ashrrev_i32_e32 v5, s69, v17
	v_bfe_u32 v6, v5, 2, 2
	v_and_b32_e32 v5, 3, v5
	buffer_store_dword v6, off, s[76:79], 0 offset:228 ; 4-byte Folded Spill
	v_lshlrev_b32_e32 v6, 3, v6
	v_lshlrev_b32_e32 v5, 1, v5
	v_add3_u32 v47, v59, v6, v5
	buffer_store_dword v5, off, s[76:79], 0 offset:264 ; 4-byte Folded Spill
	ds_read_u16 v5, v47
	s_waitcnt lgkmcnt(0)
	v_add_u16_e32 v5, 1, v5
	ds_write_b16 v47, v5
	v_ashrrev_i32_e32 v5, s69, v18
	v_bfe_u32 v6, v5, 2, 2
	v_and_b32_e32 v5, 3, v5
	buffer_store_dword v6, off, s[76:79], 0 offset:244 ; 4-byte Folded Spill
	v_lshlrev_b32_e32 v6, 3, v6
	v_lshlrev_b32_e32 v5, 1, v5
	v_add3_u32 v37, v59, v6, v5
	buffer_store_dword v5, off, s[76:79], 0 offset:316 ; 4-byte Folded Spill
	ds_read_u16 v5, v37
	s_waitcnt lgkmcnt(0)
	v_add_u16_e32 v5, 1, v5
	ds_write_b16 v37, v5
	v_ashrrev_i32_e32 v5, s69, v19
	v_bfe_u32 v6, v5, 2, 2
	v_and_b32_e32 v5, 3, v5
	v_lshlrev_b32_e32 v26, 1, v5
	v_lshlrev_b32_e32 v5, 3, v6
	v_add3_u32 v5, v59, v5, v26
	buffer_store_dword v6, off, s[76:79], 0 offset:304 ; 4-byte Folded Spill
	ds_read_u16 v6, v5
	buffer_store_dword v26, off, s[76:79], 0 offset:348 ; 4-byte Folded Spill
	s_waitcnt lgkmcnt(0)
	v_add_u16_e32 v6, 1, v6
	ds_write_b16 v5, v6
	v_ashrrev_i32_e32 v6, s69, v20
	v_bfe_u32 v26, v6, 2, 2
	v_and_b32_e32 v6, 3, v6
	v_lshlrev_b32_e32 v27, 1, v6
	v_lshlrev_b32_e32 v6, 3, v26
	v_add3_u32 v46, v59, v6, v27
	ds_read_u16 v6, v46
	buffer_store_dword v26, off, s[76:79], 0 offset:236 ; 4-byte Folded Spill
	buffer_store_dword v27, off, s[76:79], 0 offset:292 ; 4-byte Folded Spill
	s_waitcnt lgkmcnt(0)
	v_add_u16_e32 v6, 1, v6
	ds_write_b16 v46, v6
	v_ashrrev_i32_e32 v6, s69, v1
	v_bfe_u32 v26, v6, 2, 2
	v_and_b32_e32 v6, 3, v6
	v_lshlrev_b32_e32 v27, 1, v6
	v_lshlrev_b32_e32 v6, 3, v26
	buffer_store_dword v26, off, s[76:79], 0 offset:240 ; 4-byte Folded Spill
	v_add3_u32 v26, v59, v6, v27
	ds_read_u16 v6, v26
	buffer_store_dword v26, off, s[76:79], 0 offset:248 ; 4-byte Folded Spill
	buffer_store_dword v27, off, s[76:79], 0 offset:296 ; 4-byte Folded Spill
	s_waitcnt lgkmcnt(0)
	v_add_u16_e32 v6, 1, v6
	ds_write_b16 v26, v6
	v_ashrrev_i32_e32 v6, s69, v2
	v_bfe_u32 v26, v6, 2, 2
	v_and_b32_e32 v6, 3, v6
	v_lshlrev_b32_e32 v27, 1, v6
	v_lshlrev_b32_e32 v6, 3, v26
	v_add3_u32 v38, v59, v6, v27
	ds_read_u16 v6, v38
	buffer_store_dword v26, off, s[76:79], 0 offset:256 ; 4-byte Folded Spill
	buffer_store_dword v27, off, s[76:79], 0 offset:320 ; 4-byte Folded Spill
	s_waitcnt lgkmcnt(0)
	v_add_u16_e32 v6, 1, v6
	ds_write_b16 v38, v6
	v_ashrrev_i32_e32 v6, s69, v3
	v_bfe_u32 v26, v6, 2, 2
	v_and_b32_e32 v6, 3, v6
	v_lshlrev_b32_e32 v27, 1, v6
	v_lshlrev_b32_e32 v6, 3, v26
	v_add3_u32 v6, v59, v6, v27
	buffer_store_dword v26, off, s[76:79], 0 offset:308 ; 4-byte Folded Spill
	ds_read_u16 v26, v6
	buffer_store_dword v27, off, s[76:79], 0 offset:352 ; 4-byte Folded Spill
	s_waitcnt lgkmcnt(0)
	v_add_u16_e32 v26, 1, v26
	ds_write_b16 v6, v26
	v_ashrrev_i32_e32 v26, s69, v4
	v_bfe_u32 v27, v26, 2, 2
	v_and_b32_e32 v26, 3, v26
	v_lshlrev_b32_e32 v28, 1, v26
	v_lshlrev_b32_e32 v26, 3, v27
	v_add3_u32 v39, v59, v26, v28
	ds_read_u16 v26, v39
	buffer_store_dword v27, off, s[76:79], 0 offset:324 ; 4-byte Folded Spill
	buffer_store_dword v28, off, s[76:79], 0 offset:360 ; 4-byte Folded Spill
	s_waitcnt lgkmcnt(0)
	v_add_u16_e32 v26, 1, v26
	ds_write_b16 v39, v26
	v_ashrrev_i32_e32 v26, s69, v21
	v_bfe_u32 v27, v26, 2, 2
	v_and_b32_e32 v26, 3, v26
	v_lshlrev_b32_e32 v28, 1, v26
	v_lshlrev_b32_e32 v26, 3, v27
	v_add3_u32 v41, v59, v26, v28
	ds_read_u16 v26, v41
	buffer_store_dword v27, off, s[76:79], 0 offset:288 ; 4-byte Folded Spill
	buffer_store_dword v28, off, s[76:79], 0 offset:336 ; 4-byte Folded Spill
	s_waitcnt lgkmcnt(0)
	v_add_u16_e32 v26, 1, v26
	ds_write_b16 v41, v26
	v_ashrrev_i32_e32 v26, s69, v22
	v_bfe_u32 v27, v26, 2, 2
	v_and_b32_e32 v26, 3, v26
	v_lshlrev_b32_e32 v28, 1, v26
	v_lshlrev_b32_e32 v26, 3, v27
	buffer_store_dword v27, off, s[76:79], 0 offset:212 ; 4-byte Folded Spill
	v_add3_u32 v27, v59, v26, v28
	ds_read_u16 v26, v27
	buffer_store_dword v27, off, s[76:79], 0 offset:192 ; 4-byte Folded Spill
	buffer_store_dword v28, off, s[76:79], 0 offset:220 ; 4-byte Folded Spill
	s_waitcnt lgkmcnt(0)
	v_add_u16_e32 v26, 1, v26
	ds_write_b16 v27, v26
	v_ashrrev_i32_e32 v26, s69, v23
	v_bfe_u32 v27, v26, 2, 2
	v_and_b32_e32 v26, 3, v26
	v_lshlrev_b32_e32 v28, 1, v26
	v_lshlrev_b32_e32 v26, 3, v27
	buffer_store_dword v27, off, s[76:79], 0 offset:200 ; 4-byte Folded Spill
	;; [unrolled: 13-line block ×7, first 2 shown]
	v_add3_u32 v27, v59, v26, v28
	ds_read_u16 v26, v27
	buffer_store_dword v28, off, s[76:79], 0 offset:148 ; 4-byte Folded Spill
	buffer_store_dword v27, off, s[76:79], 0 offset:124 ; 4-byte Folded Spill
	s_waitcnt lgkmcnt(0)
	v_add_u16_e32 v26, 1, v26
	ds_write_b16 v27, v26
	s_waitcnt vmcnt(0) lgkmcnt(0)
	s_barrier
	s_branch .LBB1_78
.LBB1_77:                               ;   in Loop: Header=BB1_78 Depth=2
	s_or_b64 exec, exec, s[62:63]
	s_add_i32 s33, s33, 8
	s_cmp_eq_u32 s33, 32
	s_cbranch_scc1 .LBB1_108
.LBB1_78:                               ;   Parent Loop BB1_76 Depth=1
                                        ; =>  This Inner Loop Header: Depth=2
	v_add_u32_e32 v26, s33, v59
	ds_read_b64 v[27:28], v26
	s_waitcnt lgkmcnt(0)
	ds_write_b64 v61, v[27:28]
	s_waitcnt lgkmcnt(0)
	s_barrier
	s_and_saveexec_b64 s[72:73], s[48:49]
	s_cbranch_execz .LBB1_80
; %bb.79:                               ;   in Loop: Header=BB1_78 Depth=2
	v_add_u32_e32 v31, v61, v60
	ds_read_b128 v[27:30], v31
	s_waitcnt lgkmcnt(0)
	v_add_co_u32_e64 v27, s[62:63], v29, v27
	v_addc_co_u32_e64 v28, s[62:63], v30, v28, s[62:63]
	ds_write_b64 v31, v[27:28] offset:8
.LBB1_80:                               ;   in Loop: Header=BB1_78 Depth=2
	s_or_b64 exec, exec, s[72:73]
	s_waitcnt lgkmcnt(0)
	s_barrier
	s_and_saveexec_b64 s[72:73], s[50:51]
	s_cbranch_execz .LBB1_82
; %bb.81:                               ;   in Loop: Header=BB1_78 Depth=2
	ds_read_b64 v[27:28], v63 offset:28696
	ds_read_b64 v[29:30], v62 offset:28696
	s_waitcnt lgkmcnt(0)
	v_add_co_u32_e64 v27, s[62:63], v29, v27
	v_addc_co_u32_e64 v28, s[62:63], v30, v28, s[62:63]
	ds_write_b64 v62, v[27:28] offset:28696
.LBB1_82:                               ;   in Loop: Header=BB1_78 Depth=2
	s_or_b64 exec, exec, s[72:73]
	s_waitcnt lgkmcnt(0)
	s_barrier
	s_and_saveexec_b64 s[72:73], s[52:53]
	s_cbranch_execz .LBB1_84
; %bb.83:                               ;   in Loop: Header=BB1_78 Depth=2
	ds_read_b64 v[27:28], v52 offset:28696
	ds_read_b64 v[29:30], v51 offset:28696
	s_waitcnt lgkmcnt(0)
	v_add_co_u32_e64 v27, s[62:63], v29, v27
	v_addc_co_u32_e64 v28, s[62:63], v30, v28, s[62:63]
	ds_write_b64 v51, v[27:28] offset:28696
.LBB1_84:                               ;   in Loop: Header=BB1_78 Depth=2
	;; [unrolled: 13-line block ×5, first 2 shown]
	s_or_b64 exec, exec, s[72:73]
	s_waitcnt lgkmcnt(0)
	s_barrier
	s_and_saveexec_b64 s[72:73], s[60:61]
	s_cbranch_execz .LBB1_92
; %bb.91:                               ;   in Loop: Header=BB1_78 Depth=2
	v_add_u32_e64 v27, 24, 0
	ds_read2st64_b64 v[27:30], v27 offset0:57 offset1:58
	s_waitcnt lgkmcnt(0)
	v_add_co_u32_e64 v27, s[62:63], v29, v27
	v_addc_co_u32_e64 v28, s[62:63], v30, v28, s[62:63]
	ds_write_b64 v49, v[27:28] offset:29720
.LBB1_92:                               ;   in Loop: Header=BB1_78 Depth=2
	s_or_b64 exec, exec, s[72:73]
	s_waitcnt lgkmcnt(0)
	s_barrier
	s_barrier
	s_and_saveexec_b64 s[72:73], s[60:61]
	s_cbranch_execz .LBB1_94
; %bb.93:                               ;   in Loop: Header=BB1_78 Depth=2
	ds_read_b64 v[27:28], v49 offset:29720
	v_mov_b32_e32 v50, v49
	v_add_u32_e64 v31, 24, 0
	s_waitcnt lgkmcnt(0)
	ds_write_b64 v49, v[27:28] offset:29728
	s_waitcnt lgkmcnt(0)
	ds_write_b64 v49, v[49:50] offset:29720
	s_waitcnt lgkmcnt(0)
	ds_read2st64_b64 v[27:30], v31 offset0:57 offset1:58
	s_waitcnt lgkmcnt(0)
	v_add_co_u32_e64 v27, s[62:63], v29, v27
	v_addc_co_u32_e64 v28, s[62:63], v30, v28, s[62:63]
	ds_write2st64_b64 v31, v[29:30], v[27:28] offset0:57 offset1:58
.LBB1_94:                               ;   in Loop: Header=BB1_78 Depth=2
	s_or_b64 exec, exec, s[72:73]
	s_waitcnt lgkmcnt(0)
	s_barrier
	s_and_saveexec_b64 s[72:73], s[58:59]
	s_cbranch_execz .LBB1_96
; %bb.95:                               ;   in Loop: Header=BB1_78 Depth=2
	ds_read_b64 v[27:28], v57 offset:28696
	ds_read_b64 v[29:30], v25 offset:28696
	s_waitcnt lgkmcnt(1)
	ds_write_b64 v25, v[27:28] offset:28696
	s_waitcnt lgkmcnt(1)
	v_add_co_u32_e64 v27, s[62:63], v27, v29
	v_addc_co_u32_e64 v28, s[62:63], v28, v30, s[62:63]
	ds_write_b64 v57, v[27:28] offset:28696
.LBB1_96:                               ;   in Loop: Header=BB1_78 Depth=2
	s_or_b64 exec, exec, s[72:73]
	s_waitcnt lgkmcnt(0)
	s_barrier
	s_and_saveexec_b64 s[72:73], s[56:57]
	s_cbranch_execz .LBB1_98
; %bb.97:                               ;   in Loop: Header=BB1_78 Depth=2
	ds_read_b64 v[27:28], v58 offset:28696
	ds_read_b64 v[29:30], v48 offset:28696
	s_waitcnt lgkmcnt(1)
	ds_write_b64 v48, v[27:28] offset:28696
	s_waitcnt lgkmcnt(1)
	v_add_co_u32_e64 v27, s[62:63], v27, v29
	v_addc_co_u32_e64 v28, s[62:63], v28, v30, s[62:63]
	ds_write_b64 v58, v[27:28] offset:28696
.LBB1_98:                               ;   in Loop: Header=BB1_78 Depth=2
	s_or_b64 exec, exec, s[72:73]
	s_waitcnt lgkmcnt(0)
	s_barrier
	s_and_saveexec_b64 s[72:73], s[54:55]
	s_cbranch_execz .LBB1_100
; %bb.99:                               ;   in Loop: Header=BB1_78 Depth=2
	ds_read_b64 v[27:28], v53 offset:28696
	ds_read_b64 v[29:30], v54 offset:28696
	s_waitcnt lgkmcnt(1)
	ds_write_b64 v54, v[27:28] offset:28696
	s_waitcnt lgkmcnt(1)
	v_add_co_u32_e64 v27, s[62:63], v27, v29
	v_addc_co_u32_e64 v28, s[62:63], v28, v30, s[62:63]
	ds_write_b64 v53, v[27:28] offset:28696
.LBB1_100:                              ;   in Loop: Header=BB1_78 Depth=2
	s_or_b64 exec, exec, s[72:73]
	s_waitcnt lgkmcnt(0)
	s_barrier
	s_and_saveexec_b64 s[72:73], s[52:53]
	s_cbranch_execz .LBB1_102
; %bb.101:                              ;   in Loop: Header=BB1_78 Depth=2
	ds_read_b64 v[27:28], v51 offset:28696
	ds_read_b64 v[29:30], v52 offset:28696
	s_waitcnt lgkmcnt(1)
	ds_write_b64 v52, v[27:28] offset:28696
	s_waitcnt lgkmcnt(1)
	v_add_co_u32_e64 v27, s[62:63], v27, v29
	v_addc_co_u32_e64 v28, s[62:63], v28, v30, s[62:63]
	ds_write_b64 v51, v[27:28] offset:28696
.LBB1_102:                              ;   in Loop: Header=BB1_78 Depth=2
	s_or_b64 exec, exec, s[72:73]
	s_waitcnt lgkmcnt(0)
	s_barrier
	s_and_saveexec_b64 s[72:73], s[50:51]
	s_cbranch_execz .LBB1_104
; %bb.103:                              ;   in Loop: Header=BB1_78 Depth=2
	ds_read_b64 v[27:28], v62 offset:28696
	ds_read_b64 v[29:30], v63 offset:28696
	s_waitcnt lgkmcnt(1)
	ds_write_b64 v63, v[27:28] offset:28696
	s_waitcnt lgkmcnt(1)
	v_add_co_u32_e64 v27, s[62:63], v27, v29
	v_addc_co_u32_e64 v28, s[62:63], v28, v30, s[62:63]
	ds_write_b64 v62, v[27:28] offset:28696
.LBB1_104:                              ;   in Loop: Header=BB1_78 Depth=2
	s_or_b64 exec, exec, s[72:73]
	s_waitcnt lgkmcnt(0)
	s_barrier
	s_and_saveexec_b64 s[72:73], s[48:49]
	s_cbranch_execz .LBB1_106
; %bb.105:                              ;   in Loop: Header=BB1_78 Depth=2
	v_add_u32_e32 v50, v61, v60
	ds_read_b128 v[27:30], v50
	s_waitcnt lgkmcnt(0)
	v_add_co_u32_e64 v33, s[62:63], v29, v27
	v_addc_co_u32_e64 v34, s[62:63], v30, v28, s[62:63]
	v_mov_b32_e32 v31, v29
	v_mov_b32_e32 v32, v30
	ds_write_b128 v50, v[31:34]
.LBB1_106:                              ;   in Loop: Header=BB1_78 Depth=2
	s_or_b64 exec, exec, s[72:73]
	s_waitcnt lgkmcnt(0)
	s_barrier
	s_barrier
	ds_read_b64 v[55:56], v49 offset:29728
	s_waitcnt lgkmcnt(0)
	s_barrier
	ds_read_b64 v[27:28], v61
	s_waitcnt lgkmcnt(0)
	ds_write_b64 v26, v[27:28]
	s_and_saveexec_b64 s[62:63], s[60:61]
	s_cbranch_execz .LBB1_77
; %bb.107:                              ;   in Loop: Header=BB1_78 Depth=2
	v_mov_b32_e32 v26, s33
	ds_write_b64 v26, v[55:56] offset:28672
	s_branch .LBB1_77
.LBB1_108:                              ;   in Loop: Header=BB1_76 Depth=1
	s_waitcnt lgkmcnt(0)
	s_barrier
	s_and_saveexec_b64 s[62:63], s[54:55]
	s_cbranch_execz .LBB1_110
; %bb.109:                              ;   in Loop: Header=BB1_76 Depth=1
	buffer_load_dword v27, off, s[76:79], 0 offset:72 ; 4-byte Folded Reload
	s_waitcnt vmcnt(0)
	ds_read_b32 v26, v27 offset:4096
	s_waitcnt lgkmcnt(0)
	v_add_u16_sdwa v26, v26, v26 dst_sel:DWORD dst_unused:UNUSED_PAD src0_sel:WORD_1 src1_sel:DWORD
	ds_write_b16 v27, v26 offset:4098
.LBB1_110:                              ;   in Loop: Header=BB1_76 Depth=1
	s_or_b64 exec, exec, s[62:63]
	s_waitcnt lgkmcnt(0)
	s_barrier
	s_and_saveexec_b64 s[62:63], s[56:57]
	s_cbranch_execz .LBB1_112
; %bb.111:                              ;   in Loop: Header=BB1_76 Depth=1
	buffer_load_dword v26, off, s[76:79], 0 offset:56 ; 4-byte Folded Reload
	buffer_load_dword v28, off, s[76:79], 0 offset:60 ; 4-byte Folded Reload
	s_waitcnt vmcnt(1)
	ds_read_u16 v26, v26 offset:28670
	s_waitcnt vmcnt(0)
	ds_read_u16 v27, v28 offset:28670
	s_waitcnt lgkmcnt(0)
	v_add_u16_e32 v26, v27, v26
	ds_write_b16 v28, v26 offset:28670
.LBB1_112:                              ;   in Loop: Header=BB1_76 Depth=1
	s_or_b64 exec, exec, s[62:63]
	s_waitcnt lgkmcnt(0)
	s_barrier
	s_and_saveexec_b64 s[62:63], s[58:59]
	s_cbranch_execz .LBB1_114
; %bb.113:                              ;   in Loop: Header=BB1_76 Depth=1
	buffer_load_dword v26, off, s[76:79], 0 offset:64 ; 4-byte Folded Reload
	buffer_load_dword v28, off, s[76:79], 0 offset:68 ; 4-byte Folded Reload
	s_waitcnt vmcnt(1)
	ds_read_u16 v26, v26 offset:28670
	s_waitcnt vmcnt(0)
	ds_read_u16 v27, v28 offset:28670
	s_waitcnt lgkmcnt(0)
	v_add_u16_e32 v26, v27, v26
	ds_write_b16 v28, v26 offset:28670
.LBB1_114:                              ;   in Loop: Header=BB1_76 Depth=1
	s_or_b64 exec, exec, s[62:63]
	s_waitcnt lgkmcnt(0)
	s_barrier
	s_and_saveexec_b64 s[62:63], s[60:61]
	s_cbranch_execz .LBB1_116
; %bb.115:                              ;   in Loop: Header=BB1_76 Depth=1
	ds_read_u16 v26, v49 offset:28686
	ds_read_u16 v27, v49 offset:28702
	s_waitcnt lgkmcnt(0)
	v_add_u32_e32 v26, v27, v26
	ds_write_b16 v49, v26 offset:28702
.LBB1_116:                              ;   in Loop: Header=BB1_76 Depth=1
	s_or_b64 exec, exec, s[62:63]
	s_waitcnt lgkmcnt(0)
	s_barrier
	s_barrier
	s_and_saveexec_b64 s[62:63], s[60:61]
	s_cbranch_execz .LBB1_118
; %bb.117:                              ;   in Loop: Header=BB1_76 Depth=1
	ds_read_u16 v26, v49 offset:28702
	s_waitcnt lgkmcnt(0)
	ds_write_b16 v49, v26 offset:29736
	s_waitcnt lgkmcnt(0)
	ds_write_b16 v49, v49 offset:28702
	s_waitcnt lgkmcnt(0)
	ds_read_u16 v26, v49 offset:28702
	ds_read_u16 v27, v49 offset:28686
	s_waitcnt lgkmcnt(1)
	ds_write_b16 v49, v26 offset:28686
	s_waitcnt lgkmcnt(1)
	v_add_u32_e32 v26, v26, v27
	ds_write_b16 v49, v26 offset:28702
.LBB1_118:                              ;   in Loop: Header=BB1_76 Depth=1
	s_or_b64 exec, exec, s[62:63]
	s_waitcnt lgkmcnt(0)
	s_barrier
	s_and_saveexec_b64 s[62:63], s[58:59]
	s_cbranch_execz .LBB1_120
; %bb.119:                              ;   in Loop: Header=BB1_76 Depth=1
	buffer_load_dword v29, off, s[76:79], 0 offset:68 ; 4-byte Folded Reload
	buffer_load_dword v28, off, s[76:79], 0 offset:64 ; 4-byte Folded Reload
	s_waitcnt vmcnt(1)
	ds_read_u16 v26, v29 offset:28670
	s_waitcnt vmcnt(0)
	ds_read_u16 v27, v28 offset:28670
	s_waitcnt lgkmcnt(1)
	ds_write_b16 v28, v26 offset:28670
	s_waitcnt lgkmcnt(1)
	v_add_u16_e32 v26, v26, v27
	ds_write_b16 v29, v26 offset:28670
.LBB1_120:                              ;   in Loop: Header=BB1_76 Depth=1
	s_or_b64 exec, exec, s[62:63]
	s_waitcnt lgkmcnt(0)
	s_barrier
	s_and_saveexec_b64 s[62:63], s[56:57]
	s_cbranch_execz .LBB1_122
; %bb.121:                              ;   in Loop: Header=BB1_76 Depth=1
	buffer_load_dword v29, off, s[76:79], 0 offset:60 ; 4-byte Folded Reload
	buffer_load_dword v28, off, s[76:79], 0 offset:56 ; 4-byte Folded Reload
	s_waitcnt vmcnt(1)
	ds_read_u16 v26, v29 offset:28670
	s_waitcnt vmcnt(0)
	ds_read_u16 v27, v28 offset:28670
	s_waitcnt lgkmcnt(1)
	ds_write_b16 v28, v26 offset:28670
	s_waitcnt lgkmcnt(1)
	v_add_u16_e32 v26, v26, v27
	ds_write_b16 v29, v26 offset:28670
.LBB1_122:                              ;   in Loop: Header=BB1_76 Depth=1
	s_or_b64 exec, exec, s[62:63]
	s_waitcnt lgkmcnt(0)
	s_barrier
	s_and_saveexec_b64 s[62:63], s[54:55]
	s_cbranch_execz .LBB1_124
; %bb.123:                              ;   in Loop: Header=BB1_76 Depth=1
	buffer_load_dword v28, off, s[76:79], 0 offset:72 ; 4-byte Folded Reload
	s_waitcnt vmcnt(0)
	ds_read_b32 v26, v28 offset:4096
	s_waitcnt lgkmcnt(0)
	v_add_u16_sdwa v27, v26, v26 dst_sel:DWORD dst_unused:UNUSED_PAD src0_sel:WORD_1 src1_sel:DWORD
	v_alignbit_b32 v26, v27, v26, 16
	ds_write_b32 v28, v26 offset:4096
.LBB1_124:                              ;   in Loop: Header=BB1_76 Depth=1
	s_or_b64 exec, exec, s[62:63]
	buffer_load_dword v26, off, s[76:79], 0 offset:372 ; 4-byte Folded Reload
	buffer_load_dword v27, off, s[76:79], 0 offset:376 ; 4-byte Folded Reload
	s_waitcnt vmcnt(0) lgkmcnt(0)
	s_barrier
	s_barrier
	;; [unrolled: 1-line block ×3, first 2 shown]
	s_mov_b32 s72, 0
	s_mov_b32 s62, s72
	;; [unrolled: 1-line block ×4, first 2 shown]
	s_add_i32 s33, s69, 4
	v_lshl_or_b32 v26, v26, 3, v27
	ds_read_u16 v26, v26 offset:28672
	ds_read_u16 v27, v7
	s_waitcnt lgkmcnt(0)
	v_add_u16_e32 v28, 1, v27
	ds_write_b16 v7, v28
	buffer_load_dword v7, off, s[76:79], 0 offset:340 ; 4-byte Folded Reload
	buffer_load_dword v28, off, s[76:79], 0 offset:364 ; 4-byte Folded Reload
	s_waitcnt vmcnt(0)
	v_lshl_or_b32 v7, v7, 3, v28
	ds_read_u16 v7, v7 offset:28672
	ds_read_u16 v28, v8
	s_waitcnt lgkmcnt(0)
	v_add_u16_e32 v29, 1, v28
	ds_write_b16 v8, v29
	buffer_load_dword v8, off, s[76:79], 0 offset:356 ; 4-byte Folded Reload
	buffer_load_dword v29, off, s[76:79], 0 offset:368 ; 4-byte Folded Reload
	s_waitcnt vmcnt(0)
	v_lshl_or_b32 v8, v8, 3, v29
	ds_read_u16 v8, v8 offset:28672
	ds_read_u16 v29, v0
	s_waitcnt lgkmcnt(0)
	v_add_u16_e32 v30, 1, v29
	ds_write_b16 v0, v30
	buffer_load_dword v30, off, s[76:79], 0 offset:92 ; 4-byte Folded Reload
	buffer_load_dword v31, off, s[76:79], 0 offset:96 ; 4-byte Folded Reload
	;; [unrolled: 1-line block ×4, first 2 shown]
	v_and_b32_e32 v0, 0xffff, v27
	v_add_lshl_u32 v0, v0, v26, 2
	s_waitcnt vmcnt(3)
	ds_write2st64_b32 v0, v9, v30 offset1:48
	v_and_b32_e32 v0, 0xffff, v28
	v_add_lshl_u32 v0, v0, v7, 2
	s_waitcnt vmcnt(2)
	ds_write2st64_b32 v0, v10, v31 offset1:48
	;; [unrolled: 4-line block ×3, first 2 shown]
	buffer_load_dword v0, off, s[76:79], 0 offset:268 ; 4-byte Folded Reload
	buffer_load_dword v7, off, s[76:79], 0 offset:328 ; 4-byte Folded Reload
	;; [unrolled: 1-line block ×3, first 2 shown]
	s_waitcnt vmcnt(1)
	v_lshl_or_b32 v0, v0, 3, v7
	ds_read_u16 v0, v0 offset:28672
	s_waitcnt vmcnt(0)
	ds_read_u16 v7, v9
	s_waitcnt lgkmcnt(0)
	v_and_b32_e32 v8, 0xffff, v7
	v_add_lshl_u32 v0, v8, v0, 2
	ds_write2st64_b32 v0, v12, v33 offset1:48
	v_add_u16_e32 v0, 1, v7
	ds_write_b16 v9, v0
	buffer_load_dword v0, off, s[76:79], 0 offset:252 ; 4-byte Folded Reload
	buffer_load_dword v7, off, s[76:79], 0 offset:312 ; 4-byte Folded Reload
	s_waitcnt vmcnt(0)
	v_lshl_or_b32 v0, v0, 3, v7
	ds_read_u16 v0, v0 offset:28672
	ds_read_u16 v7, v36
	s_waitcnt lgkmcnt(0)
	v_add_u16_e32 v8, 1, v7
	ds_write_b16 v36, v8
	buffer_load_dword v8, off, s[76:79], 0 offset:272 ; 4-byte Folded Reload
	buffer_load_dword v9, off, s[76:79], 0 offset:332 ; 4-byte Folded Reload
	v_and_b32_e32 v7, 0xffff, v7
	v_add_lshl_u32 v0, v7, v0, 2
	s_waitcnt vmcnt(0)
	v_lshl_or_b32 v8, v8, 3, v9
	ds_read_u16 v8, v8 offset:28672
	ds_read_u16 v9, v35
	s_waitcnt lgkmcnt(0)
	v_add_u16_e32 v10, 1, v9
	ds_write_b16 v35, v10
	buffer_load_dword v10, off, s[76:79], 0 offset:300 ; 4-byte Folded Reload
	buffer_load_dword v11, off, s[76:79], 0 offset:344 ; 4-byte Folded Reload
	s_waitcnt vmcnt(0)
	v_lshl_or_b32 v10, v10, 3, v11
	ds_read_u16 v10, v10 offset:28672
	ds_read_u16 v11, v40
	s_waitcnt lgkmcnt(0)
	v_add_u16_e32 v12, 1, v11
	ds_write_b16 v40, v12
	buffer_load_dword v26, off, s[76:79], 0 offset:108 ; 4-byte Folded Reload
	buffer_load_dword v27, off, s[76:79], 0 offset:112 ; 4-byte Folded Reload
	;; [unrolled: 1-line block ×4, first 2 shown]
	s_waitcnt vmcnt(3)
	ds_write2st64_b32 v0, v13, v26 offset1:48
	v_and_b32_e32 v0, 0xffff, v9
	v_add_lshl_u32 v0, v0, v8, 2
	s_waitcnt vmcnt(2)
	ds_write2st64_b32 v0, v14, v27 offset1:48
	v_and_b32_e32 v0, 0xffff, v11
	v_add_lshl_u32 v0, v0, v10, 2
	s_waitcnt vmcnt(1)
	ds_write2st64_b32 v0, v15, v28 offset1:48
	buffer_load_dword v0, off, s[76:79], 0 offset:232 ; 4-byte Folded Reload
	buffer_load_dword v7, off, s[76:79], 0 offset:260 ; 4-byte Folded Reload
	;; [unrolled: 1-line block ×3, first 2 shown]
	s_waitcnt vmcnt(1)
	v_lshl_or_b32 v0, v0, 3, v7
	ds_read_u16 v0, v0 offset:28672
	s_waitcnt vmcnt(0)
	ds_read_u16 v7, v9
	s_waitcnt lgkmcnt(0)
	v_and_b32_e32 v8, 0xffff, v7
	v_add_lshl_u32 v0, v8, v0, 2
	ds_write2st64_b32 v0, v16, v29 offset1:48
	v_add_u16_e32 v0, 1, v7
	ds_write_b16 v9, v0
	buffer_load_dword v0, off, s[76:79], 0 offset:228 ; 4-byte Folded Reload
	buffer_load_dword v7, off, s[76:79], 0 offset:264 ; 4-byte Folded Reload
	s_waitcnt vmcnt(0)
	v_lshl_or_b32 v0, v0, 3, v7
	ds_read_u16 v0, v0 offset:28672
	ds_read_u16 v7, v47
	s_waitcnt lgkmcnt(0)
	v_add_u16_e32 v8, 1, v7
	ds_write_b16 v47, v8
	buffer_load_dword v8, off, s[76:79], 0 offset:244 ; 4-byte Folded Reload
	buffer_load_dword v9, off, s[76:79], 0 offset:316 ; 4-byte Folded Reload
	s_waitcnt vmcnt(0)
	v_lshl_or_b32 v8, v8, 3, v9
	ds_read_u16 v8, v8 offset:28672
	ds_read_u16 v9, v37
	s_waitcnt lgkmcnt(0)
	;; [unrolled: 9-line block ×3, first 2 shown]
	v_add_u16_e32 v12, 1, v11
	ds_write_b16 v5, v12
	buffer_load_dword v12, off, s[76:79], 0 offset:4 ; 4-byte Folded Reload
	buffer_load_dword v13, off, s[76:79], 0 offset:8 ; 4-byte Folded Reload
	;; [unrolled: 1-line block ×4, first 2 shown]
	v_and_b32_e32 v5, 0xffff, v7
	v_add_lshl_u32 v0, v5, v0, 2
	s_waitcnt vmcnt(3)
	ds_write2st64_b32 v0, v17, v12 offset1:48
	v_and_b32_e32 v0, 0xffff, v9
	v_add_lshl_u32 v0, v0, v8, 2
	s_waitcnt vmcnt(2)
	ds_write2st64_b32 v0, v18, v13 offset1:48
	v_and_b32_e32 v0, 0xffff, v11
	v_add_lshl_u32 v0, v0, v10, 2
	s_waitcnt vmcnt(1)
	ds_write2st64_b32 v0, v19, v14 offset1:48
	buffer_load_dword v0, off, s[76:79], 0 offset:236 ; 4-byte Folded Reload
	buffer_load_dword v5, off, s[76:79], 0 offset:292 ; 4-byte Folded Reload
	s_waitcnt vmcnt(0)
	v_lshl_or_b32 v0, v0, 3, v5
	ds_read_u16 v0, v0 offset:28672
	ds_read_u16 v5, v46
	s_waitcnt lgkmcnt(0)
	v_and_b32_e32 v7, 0xffff, v5
	v_add_lshl_u32 v0, v7, v0, 2
	ds_write2st64_b32 v0, v20, v15 offset1:48
	v_add_u16_e32 v0, 1, v5
	ds_write_b16 v46, v0
	buffer_load_dword v0, off, s[76:79], 0 offset:240 ; 4-byte Folded Reload
	buffer_load_dword v5, off, s[76:79], 0 offset:296 ; 4-byte Folded Reload
	;; [unrolled: 1-line block ×3, first 2 shown]
	s_waitcnt vmcnt(1)
	v_lshl_or_b32 v0, v0, 3, v5
	ds_read_u16 v0, v0 offset:28672
	s_waitcnt vmcnt(0)
	ds_read_u16 v5, v8
	s_waitcnt lgkmcnt(0)
	v_add_u16_e32 v7, 1, v5
	ds_write_b16 v8, v7
	buffer_load_dword v7, off, s[76:79], 0 offset:256 ; 4-byte Folded Reload
	buffer_load_dword v8, off, s[76:79], 0 offset:320 ; 4-byte Folded Reload
	v_and_b32_e32 v5, 0xffff, v5
	v_add_lshl_u32 v0, v5, v0, 2
	s_waitcnt vmcnt(0)
	v_lshl_or_b32 v7, v7, 3, v8
	ds_read_u16 v7, v7 offset:28672
	ds_read_u16 v8, v38
	s_waitcnt lgkmcnt(0)
	v_add_u16_e32 v9, 1, v8
	ds_write_b16 v38, v9
	buffer_load_dword v9, off, s[76:79], 0 offset:308 ; 4-byte Folded Reload
	buffer_load_dword v10, off, s[76:79], 0 offset:352 ; 4-byte Folded Reload
	s_waitcnt vmcnt(0)
	v_lshl_or_b32 v9, v9, 3, v10
	ds_read_u16 v9, v9 offset:28672
	ds_read_u16 v10, v6
	s_waitcnt lgkmcnt(0)
	v_add_u16_e32 v11, 1, v10
	ds_write_b16 v6, v11
	buffer_load_dword v6, off, s[76:79], 0 offset:324 ; 4-byte Folded Reload
	buffer_load_dword v11, off, s[76:79], 0 offset:360 ; 4-byte Folded Reload
	s_waitcnt vmcnt(0)
	v_lshl_or_b32 v6, v6, 3, v11
	ds_read_u16 v11, v39
	ds_read_u16 v6, v6 offset:28672
	s_waitcnt lgkmcnt(1)
	v_add_u16_e32 v12, 1, v11
	ds_write_b16 v39, v12
	buffer_load_dword v12, off, s[76:79], 0 offset:288 ; 4-byte Folded Reload
	buffer_load_dword v13, off, s[76:79], 0 offset:336 ; 4-byte Folded Reload
	s_waitcnt vmcnt(0)
	v_lshl_or_b32 v12, v12, 3, v13
	ds_read_u16 v12, v12 offset:28672
	ds_read_u16 v13, v41
	buffer_load_dword v14, off, s[76:79], 0 offset:76 ; 4-byte Folded Reload
	buffer_load_dword v15, off, s[76:79], 0 offset:80 ; 4-byte Folded Reload
	;; [unrolled: 1-line block ×4, first 2 shown]
	s_waitcnt vmcnt(3)
	ds_write2st64_b32 v0, v1, v14 offset1:48
	s_waitcnt lgkmcnt(1)
	v_add_u16_e32 v1, 1, v13
	ds_write_b16 v41, v1
	v_and_b32_e32 v0, 0xffff, v8
	buffer_load_dword v1, off, s[76:79], 0 offset:212 ; 4-byte Folded Reload
	buffer_load_dword v5, off, s[76:79], 0 offset:220 ; 4-byte Folded Reload
	v_add_lshl_u32 v0, v0, v7, 2
	buffer_load_dword v7, off, s[76:79], 0 offset:192 ; 4-byte Folded Reload
	s_waitcnt vmcnt(5)
	ds_write2st64_b32 v0, v2, v15 offset1:48
	v_and_b32_e32 v0, 0xffff, v10
	v_add_lshl_u32 v0, v0, v9, 2
	s_waitcnt vmcnt(4)
	ds_write2st64_b32 v0, v3, v16 offset1:48
	v_and_b32_e32 v3, 0xffff, v11
	v_add_lshl_u32 v3, v3, v6, 2
	s_waitcnt vmcnt(1)
	v_lshl_or_b32 v1, v1, 3, v5
	ds_read_u16 v1, v1 offset:28672
	s_waitcnt vmcnt(0)
	ds_read_u16 v5, v7
	s_waitcnt lgkmcnt(0)
	v_add_u16_e32 v0, 1, v5
	ds_write_b16 v7, v0
	buffer_load_dword v0, off, s[76:79], 0 offset:200 ; 4-byte Folded Reload
	buffer_load_dword v2, off, s[76:79], 0 offset:208 ; 4-byte Folded Reload
	;; [unrolled: 1-line block ×3, first 2 shown]
	ds_write2st64_b32 v3, v4, v17 offset1:48
	v_and_b32_e32 v3, 0xffff, v13
	v_add_lshl_u32 v3, v3, v12, 2
	s_waitcnt vmcnt(1)
	v_lshl_or_b32 v0, v0, 3, v2
	ds_read_u16 v0, v0 offset:28672
	s_waitcnt vmcnt(0)
	ds_read_u16 v2, v7
	s_waitcnt lgkmcnt(0)
	v_add_u16_e32 v4, 1, v2
	ds_write_b16 v7, v4
	buffer_load_dword v4, off, s[76:79], 0 offset:188 ; 4-byte Folded Reload
	buffer_load_dword v6, off, s[76:79], 0 offset:204 ; 4-byte Folded Reload
	;; [unrolled: 1-line block ×3, first 2 shown]
	s_waitcnt vmcnt(1)
	v_lshl_or_b32 v4, v4, 3, v6
	ds_read_u16 v4, v4 offset:28672
	s_waitcnt vmcnt(0)
	ds_read_u16 v6, v11
	buffer_load_dword v7, off, s[76:79], 0 offset:20 ; 4-byte Folded Reload
	buffer_load_dword v8, off, s[76:79], 0 offset:24 ; 4-byte Folded Reload
	;; [unrolled: 1-line block ×4, first 2 shown]
	s_waitcnt vmcnt(3)
	ds_write2st64_b32 v3, v21, v7 offset1:48
	v_and_b32_e32 v3, 0xffff, v5
	v_add_lshl_u32 v1, v3, v1, 2
	s_waitcnt lgkmcnt(1)
	v_add_u16_e32 v3, 1, v6
	ds_write_b16 v11, v3
	buffer_load_dword v3, off, s[76:79], 0 offset:164 ; 4-byte Folded Reload
	buffer_load_dword v5, off, s[76:79], 0 offset:196 ; 4-byte Folded Reload
	;; [unrolled: 1-line block ×3, first 2 shown]
	s_waitcnt vmcnt(5)
	ds_write2st64_b32 v1, v22, v8 offset1:48
	v_and_b32_e32 v1, 0xffff, v2
	v_add_lshl_u32 v0, v1, v0, 2
	s_waitcnt vmcnt(4)
	ds_write2st64_b32 v0, v23, v9 offset1:48
	v_and_b32_e32 v2, 0xffff, v6
	v_add_lshl_u32 v2, v2, v4, 2
	s_waitcnt vmcnt(1)
	v_lshl_or_b32 v3, v3, 3, v5
	ds_read_u16 v3, v3 offset:28672
	s_waitcnt vmcnt(0)
	ds_read_u16 v5, v7
	s_waitcnt lgkmcnt(0)
	v_add_u16_e32 v0, 1, v5
	ds_write_b16 v7, v0
	buffer_load_dword v0, off, s[76:79], 0 offset:152 ; 4-byte Folded Reload
	buffer_load_dword v1, off, s[76:79], 0 offset:184 ; 4-byte Folded Reload
	;; [unrolled: 1-line block ×3, first 2 shown]
	ds_write2st64_b32 v2, v24, v10 offset1:48
	v_and_b32_e32 v2, 0xffff, v5
	v_add_lshl_u32 v2, v2, v3, 2
	s_waitcnt vmcnt(1)
	v_lshl_or_b32 v0, v0, 3, v1
	ds_read_u16 v0, v0 offset:28672
	s_waitcnt vmcnt(0)
	ds_read_u16 v1, v7
	s_waitcnt lgkmcnt(0)
	v_add_u16_e32 v4, 1, v1
	ds_write_b16 v7, v4
	buffer_load_dword v4, off, s[76:79], 0 offset:140 ; 4-byte Folded Reload
	buffer_load_dword v5, off, s[76:79], 0 offset:160 ; 4-byte Folded Reload
	buffer_load_dword v10, off, s[76:79], 0 offset:128 ; 4-byte Folded Reload
	v_and_b32_e32 v1, 0xffff, v1
	v_add_lshl_u32 v0, v1, v0, 2
	s_waitcnt vmcnt(1)
	v_lshl_or_b32 v4, v4, 3, v5
	ds_read_u16 v4, v4 offset:28672
	s_waitcnt vmcnt(0)
	ds_read_u16 v5, v10
	buffer_load_dword v6, off, s[76:79], 0 offset:36 ; 4-byte Folded Reload
	buffer_load_dword v7, off, s[76:79], 0 offset:40 ; 4-byte Folded Reload
	;; [unrolled: 1-line block ×4, first 2 shown]
	s_waitcnt lgkmcnt(0)
	v_add_u16_e32 v1, 1, v5
	ds_write_b16 v10, v1
	s_waitcnt vmcnt(3)
	ds_write2st64_b32 v2, v42, v6 offset1:48
	buffer_load_dword v1, off, s[76:79], 0 offset:132 ; 4-byte Folded Reload
	buffer_load_dword v2, off, s[76:79], 0 offset:148 ; 4-byte Folded Reload
	buffer_load_dword v3, off, s[76:79], 0 offset:124 ; 4-byte Folded Reload
	s_waitcnt vmcnt(5)
	ds_write2st64_b32 v0, v43, v7 offset1:48
	v_and_b32_e32 v0, 0xffff, v5
	v_add_lshl_u32 v0, v0, v4, 2
	s_waitcnt vmcnt(4)
	ds_write2st64_b32 v0, v44, v8 offset1:48
	s_waitcnt vmcnt(1)
	v_lshl_or_b32 v1, v1, 3, v2
	ds_read_u16 v1, v1 offset:28672
	s_waitcnt vmcnt(0)
	ds_read_u16 v2, v3
	s_waitcnt lgkmcnt(0)
	v_add_u16_e32 v0, 1, v2
	ds_write_b16 v3, v0
	v_and_b32_e32 v0, 0xffff, v2
	v_add_lshl_u32 v0, v0, v1, 2
	ds_write2st64_b32 v0, v45, v9 offset1:48
	s_waitcnt lgkmcnt(0)
	s_barrier
	buffer_load_dword v18, off, s[76:79], 0 offset:52 ; 4-byte Folded Reload
	v_mov_b32_e32 v0, s72
	v_mov_b32_e32 v2, s62
	;; [unrolled: 1-line block ×4, first 2 shown]
	s_waitcnt vmcnt(0)
	ds_read_b128 v[4:7], v18
	ds_write2_b64 v59, v[0:1], v[2:3] offset1:1
	ds_write2_b64 v59, v[0:1], v[2:3] offset0:2 offset1:3
	s_waitcnt lgkmcnt(2)
	v_ashrrev_i32_e32 v0, s33, v4
	v_bfe_u32 v1, v0, 2, 2
	v_and_b32_e32 v0, 3, v0
	buffer_store_dword v1, off, s[76:79], 0 offset:20 ; 4-byte Folded Spill
	v_lshlrev_b32_e32 v1, 3, v1
	v_lshlrev_b32_e32 v0, 1, v0
	buffer_store_dword v0, off, s[76:79], 0 offset:36 ; 4-byte Folded Spill
	v_add3_u32 v1, v59, v1, v0
	ds_read_u16 v0, v1
	ds_read_b128 v[12:15], v18 offset:16
	buffer_store_dword v1, off, s[76:79], 0 offset:4 ; 4-byte Folded Spill
	s_waitcnt lgkmcnt(1)
	v_add_u16_e32 v0, 1, v0
	ds_write_b16 v1, v0
	v_ashrrev_i32_e32 v0, s33, v5
	v_bfe_u32 v1, v0, 2, 2
	v_and_b32_e32 v0, 3, v0
	buffer_store_dword v1, off, s[76:79], 0 offset:76 ; 4-byte Folded Spill
	v_lshlrev_b32_e32 v1, 3, v1
	v_lshlrev_b32_e32 v0, 1, v0
	buffer_store_dword v0, off, s[76:79], 0 offset:108 ; 4-byte Folded Spill
	v_add3_u32 v1, v59, v1, v0
	ds_read_u16 v0, v1
	ds_read_b128 v[20:23], v18 offset:32
	buffer_store_dword v1, off, s[76:79], 0 offset:92 ; 4-byte Folded Spill
	s_waitcnt lgkmcnt(1)
	v_add_u16_e32 v0, 1, v0
	ds_write_b16 v1, v0
	;; [unrolled: 14-line block ×5, first 2 shown]
	v_ashrrev_i32_e32 v24, s33, v13
	v_bfe_u32 v26, v24, 2, 2
	v_and_b32_e32 v24, 3, v24
	buffer_store_dword v26, off, s[76:79], 0 offset:392 ; 4-byte Folded Spill
	v_lshlrev_b32_e32 v26, 3, v26
	v_lshlrev_b32_e32 v24, 1, v24
	buffer_store_dword v24, off, s[76:79], 0 offset:404 ; 4-byte Folded Spill
	v_add3_u32 v24, v59, v26, v24
	ds_read_u16 v26, v24
	s_waitcnt lgkmcnt(0)
	v_add_u16_e32 v26, 1, v26
	ds_write_b16 v24, v26
	v_ashrrev_i32_e32 v26, s33, v14
	v_bfe_u32 v27, v26, 2, 2
	v_and_b32_e32 v26, 3, v26
	buffer_store_dword v27, off, s[76:79], 0 offset:400 ; 4-byte Folded Spill
	v_lshlrev_b32_e32 v27, 3, v27
	v_lshlrev_b32_e32 v26, 1, v26
	buffer_store_dword v26, off, s[76:79], 0 offset:408 ; 4-byte Folded Spill
	v_add3_u32 v26, v59, v27, v26
	ds_read_u16 v27, v26
	s_waitcnt lgkmcnt(0)
	v_add_u16_e32 v27, 1, v27
	ds_write_b16 v26, v27
	v_ashrrev_i32_e32 v27, s33, v15
	v_bfe_u32 v28, v27, 2, 2
	v_and_b32_e32 v27, 3, v27
	buffer_store_dword v28, off, s[76:79], 0 offset:360 ; 4-byte Folded Spill
	v_lshlrev_b32_e32 v28, 3, v28
	v_lshlrev_b32_e32 v27, 1, v27
	v_add3_u32 v28, v59, v28, v27
	buffer_store_dword v27, off, s[76:79], 0 offset:384 ; 4-byte Folded Spill
	ds_read_u16 v27, v28
	buffer_store_dword v28, off, s[76:79], 0 offset:308 ; 4-byte Folded Spill
	s_waitcnt lgkmcnt(0)
	v_add_u16_e32 v27, 1, v27
	ds_write_b16 v28, v27
	v_ashrrev_i32_e32 v27, s33, v20
	v_bfe_u32 v28, v27, 2, 2
	v_and_b32_e32 v27, 3, v27
	buffer_store_dword v28, off, s[76:79], 0 offset:348 ; 4-byte Folded Spill
	v_lshlrev_b32_e32 v28, 3, v28
	v_lshlrev_b32_e32 v27, 1, v27
	v_add3_u32 v28, v59, v28, v27
	buffer_store_dword v27, off, s[76:79], 0 offset:380 ; 4-byte Folded Spill
	ds_read_u16 v27, v28
	buffer_store_dword v28, off, s[76:79], 0 offset:352 ; 4-byte Folded Spill
	;; [unrolled: 13-line block ×4, first 2 shown]
	s_waitcnt lgkmcnt(0)
	v_add_u16_e32 v27, 1, v27
	ds_write_b16 v28, v27
	v_ashrrev_i32_e32 v27, s33, v23
	v_bfe_u32 v28, v27, 2, 2
	v_and_b32_e32 v27, 3, v27
	v_lshlrev_b32_e32 v29, 1, v27
	v_lshlrev_b32_e32 v27, 3, v28
	buffer_store_dword v28, off, s[76:79], 0 offset:320 ; 4-byte Folded Spill
	v_add3_u32 v28, v59, v27, v29
	ds_read_u16 v27, v28
	buffer_store_dword v28, off, s[76:79], 0 offset:288 ; 4-byte Folded Spill
	buffer_store_dword v29, off, s[76:79], 0 offset:340 ; 4-byte Folded Spill
	s_waitcnt lgkmcnt(0)
	v_add_u16_e32 v27, 1, v27
	ds_write_b16 v28, v27
	v_ashrrev_i32_e32 v27, s33, v0
	v_bfe_u32 v28, v27, 2, 2
	v_and_b32_e32 v27, 3, v27
	v_lshlrev_b32_e32 v29, 1, v27
	v_lshlrev_b32_e32 v27, 3, v28
	buffer_store_dword v28, off, s[76:79], 0 offset:312 ; 4-byte Folded Spill
	v_add3_u32 v28, v59, v27, v29
	ds_read_u16 v27, v28
	buffer_store_dword v28, off, s[76:79], 0 offset:316 ; 4-byte Folded Spill
	buffer_store_dword v29, off, s[76:79], 0 offset:336 ; 4-byte Folded Spill
	;; [unrolled: 13-line block ×13, first 2 shown]
	s_waitcnt lgkmcnt(0)
	v_add_u16_e32 v27, 1, v27
	ds_write_b16 v28, v27
	buffer_load_dword v27, off, s[76:79], 0 ; 4-byte Folded Reload
	s_waitcnt vmcnt(0)
	ds_read_b128 v[44:47], v27
	ds_read_b128 v[40:43], v27 offset:16
	ds_read_b128 v[36:39], v27 offset:32
	;; [unrolled: 1-line block ×3, first 2 shown]
	s_waitcnt lgkmcnt(0)
	buffer_store_dword v28, off, s[76:79], 0 offset:412 ; 4-byte Folded Spill
	s_nop 0
	buffer_store_dword v29, off, s[76:79], 0 offset:416 ; 4-byte Folded Spill
	buffer_store_dword v30, off, s[76:79], 0 offset:420 ; 4-byte Folded Spill
	;; [unrolled: 1-line block ×3, first 2 shown]
	ds_read_b128 v[28:31], v27 offset:64
	s_waitcnt lgkmcnt(0)
	buffer_store_dword v28, off, s[76:79], 0 offset:272 ; 4-byte Folded Spill
	s_nop 0
	buffer_store_dword v29, off, s[76:79], 0 offset:276 ; 4-byte Folded Spill
	buffer_store_dword v30, off, s[76:79], 0 offset:280 ; 4-byte Folded Spill
	;; [unrolled: 1-line block ×3, first 2 shown]
	ds_read_b128 v[27:30], v27 offset:80
	s_waitcnt lgkmcnt(0)
	buffer_store_dword v27, off, s[76:79], 0 offset:168 ; 4-byte Folded Spill
	s_nop 0
	buffer_store_dword v28, off, s[76:79], 0 offset:172 ; 4-byte Folded Spill
	buffer_store_dword v29, off, s[76:79], 0 offset:176 ; 4-byte Folded Spill
	;; [unrolled: 1-line block ×3, first 2 shown]
	s_waitcnt vmcnt(0)
	s_barrier
	s_branch .LBB1_126
.LBB1_125:                              ;   in Loop: Header=BB1_126 Depth=2
	s_or_b64 exec, exec, s[62:63]
	s_add_i32 s72, s72, 8
	s_cmp_eq_u32 s72, 32
	s_cbranch_scc1 .LBB1_156
.LBB1_126:                              ;   Parent Loop BB1_76 Depth=1
                                        ; =>  This Inner Loop Header: Depth=2
	v_add_u32_e32 v27, s72, v59
	ds_read_b64 v[28:29], v27
	s_waitcnt lgkmcnt(0)
	ds_write_b64 v61, v[28:29]
	s_waitcnt lgkmcnt(0)
	s_barrier
	s_and_saveexec_b64 s[74:75], s[48:49]
	s_cbranch_execz .LBB1_128
; %bb.127:                              ;   in Loop: Header=BB1_126 Depth=2
	v_add_u32_e32 v32, v61, v60
	ds_read_b128 v[28:31], v32
	s_waitcnt lgkmcnt(0)
	v_add_co_u32_e64 v28, s[62:63], v30, v28
	v_addc_co_u32_e64 v29, s[62:63], v31, v29, s[62:63]
	ds_write_b64 v32, v[28:29] offset:8
.LBB1_128:                              ;   in Loop: Header=BB1_126 Depth=2
	s_or_b64 exec, exec, s[74:75]
	s_waitcnt lgkmcnt(0)
	s_barrier
	s_and_saveexec_b64 s[74:75], s[50:51]
	s_cbranch_execz .LBB1_130
; %bb.129:                              ;   in Loop: Header=BB1_126 Depth=2
	ds_read_b64 v[28:29], v63 offset:28696
	ds_read_b64 v[30:31], v62 offset:28696
	s_waitcnt lgkmcnt(0)
	v_add_co_u32_e64 v28, s[62:63], v30, v28
	v_addc_co_u32_e64 v29, s[62:63], v31, v29, s[62:63]
	ds_write_b64 v62, v[28:29] offset:28696
.LBB1_130:                              ;   in Loop: Header=BB1_126 Depth=2
	s_or_b64 exec, exec, s[74:75]
	s_waitcnt lgkmcnt(0)
	s_barrier
	s_and_saveexec_b64 s[74:75], s[52:53]
	s_cbranch_execz .LBB1_132
; %bb.131:                              ;   in Loop: Header=BB1_126 Depth=2
	ds_read_b64 v[28:29], v52 offset:28696
	ds_read_b64 v[30:31], v51 offset:28696
	s_waitcnt lgkmcnt(0)
	v_add_co_u32_e64 v28, s[62:63], v30, v28
	v_addc_co_u32_e64 v29, s[62:63], v31, v29, s[62:63]
	ds_write_b64 v51, v[28:29] offset:28696
.LBB1_132:                              ;   in Loop: Header=BB1_126 Depth=2
	;; [unrolled: 13-line block ×5, first 2 shown]
	s_or_b64 exec, exec, s[74:75]
	s_waitcnt lgkmcnt(0)
	s_barrier
	s_and_saveexec_b64 s[74:75], s[60:61]
	s_cbranch_execz .LBB1_140
; %bb.139:                              ;   in Loop: Header=BB1_126 Depth=2
	v_add_u32_e64 v28, 24, 0
	ds_read2st64_b64 v[28:31], v28 offset0:57 offset1:58
	s_waitcnt lgkmcnt(0)
	v_add_co_u32_e64 v28, s[62:63], v30, v28
	v_addc_co_u32_e64 v29, s[62:63], v31, v29, s[62:63]
	ds_write_b64 v49, v[28:29] offset:29720
.LBB1_140:                              ;   in Loop: Header=BB1_126 Depth=2
	s_or_b64 exec, exec, s[74:75]
	s_waitcnt lgkmcnt(0)
	s_barrier
	s_barrier
	s_and_saveexec_b64 s[74:75], s[60:61]
	s_cbranch_execz .LBB1_142
; %bb.141:                              ;   in Loop: Header=BB1_126 Depth=2
	ds_read_b64 v[28:29], v49 offset:29720
	v_mov_b32_e32 v50, v49
	v_add_u32_e64 v32, 24, 0
	s_waitcnt lgkmcnt(0)
	ds_write_b64 v49, v[28:29] offset:29728
	s_waitcnt lgkmcnt(0)
	ds_write_b64 v49, v[49:50] offset:29720
	s_waitcnt lgkmcnt(0)
	ds_read2st64_b64 v[28:31], v32 offset0:57 offset1:58
	s_waitcnt lgkmcnt(0)
	v_add_co_u32_e64 v28, s[62:63], v30, v28
	v_addc_co_u32_e64 v29, s[62:63], v31, v29, s[62:63]
	ds_write2st64_b64 v32, v[30:31], v[28:29] offset0:57 offset1:58
.LBB1_142:                              ;   in Loop: Header=BB1_126 Depth=2
	s_or_b64 exec, exec, s[74:75]
	s_waitcnt lgkmcnt(0)
	s_barrier
	s_and_saveexec_b64 s[74:75], s[58:59]
	s_cbranch_execz .LBB1_144
; %bb.143:                              ;   in Loop: Header=BB1_126 Depth=2
	ds_read_b64 v[28:29], v57 offset:28696
	ds_read_b64 v[30:31], v25 offset:28696
	s_waitcnt lgkmcnt(1)
	ds_write_b64 v25, v[28:29] offset:28696
	s_waitcnt lgkmcnt(1)
	v_add_co_u32_e64 v28, s[62:63], v28, v30
	v_addc_co_u32_e64 v29, s[62:63], v29, v31, s[62:63]
	ds_write_b64 v57, v[28:29] offset:28696
.LBB1_144:                              ;   in Loop: Header=BB1_126 Depth=2
	s_or_b64 exec, exec, s[74:75]
	s_waitcnt lgkmcnt(0)
	s_barrier
	s_and_saveexec_b64 s[74:75], s[56:57]
	s_cbranch_execz .LBB1_146
; %bb.145:                              ;   in Loop: Header=BB1_126 Depth=2
	ds_read_b64 v[28:29], v58 offset:28696
	ds_read_b64 v[30:31], v48 offset:28696
	s_waitcnt lgkmcnt(1)
	ds_write_b64 v48, v[28:29] offset:28696
	s_waitcnt lgkmcnt(1)
	v_add_co_u32_e64 v28, s[62:63], v28, v30
	v_addc_co_u32_e64 v29, s[62:63], v29, v31, s[62:63]
	ds_write_b64 v58, v[28:29] offset:28696
.LBB1_146:                              ;   in Loop: Header=BB1_126 Depth=2
	s_or_b64 exec, exec, s[74:75]
	s_waitcnt lgkmcnt(0)
	s_barrier
	s_and_saveexec_b64 s[74:75], s[54:55]
	s_cbranch_execz .LBB1_148
; %bb.147:                              ;   in Loop: Header=BB1_126 Depth=2
	ds_read_b64 v[28:29], v53 offset:28696
	ds_read_b64 v[30:31], v54 offset:28696
	s_waitcnt lgkmcnt(1)
	ds_write_b64 v54, v[28:29] offset:28696
	s_waitcnt lgkmcnt(1)
	v_add_co_u32_e64 v28, s[62:63], v28, v30
	v_addc_co_u32_e64 v29, s[62:63], v29, v31, s[62:63]
	ds_write_b64 v53, v[28:29] offset:28696
.LBB1_148:                              ;   in Loop: Header=BB1_126 Depth=2
	s_or_b64 exec, exec, s[74:75]
	s_waitcnt lgkmcnt(0)
	s_barrier
	s_and_saveexec_b64 s[74:75], s[52:53]
	s_cbranch_execz .LBB1_150
; %bb.149:                              ;   in Loop: Header=BB1_126 Depth=2
	ds_read_b64 v[28:29], v51 offset:28696
	ds_read_b64 v[30:31], v52 offset:28696
	s_waitcnt lgkmcnt(1)
	ds_write_b64 v52, v[28:29] offset:28696
	s_waitcnt lgkmcnt(1)
	v_add_co_u32_e64 v28, s[62:63], v28, v30
	v_addc_co_u32_e64 v29, s[62:63], v29, v31, s[62:63]
	ds_write_b64 v51, v[28:29] offset:28696
.LBB1_150:                              ;   in Loop: Header=BB1_126 Depth=2
	s_or_b64 exec, exec, s[74:75]
	s_waitcnt lgkmcnt(0)
	s_barrier
	s_and_saveexec_b64 s[74:75], s[50:51]
	s_cbranch_execz .LBB1_152
; %bb.151:                              ;   in Loop: Header=BB1_126 Depth=2
	ds_read_b64 v[28:29], v62 offset:28696
	ds_read_b64 v[30:31], v63 offset:28696
	s_waitcnt lgkmcnt(1)
	ds_write_b64 v63, v[28:29] offset:28696
	s_waitcnt lgkmcnt(1)
	v_add_co_u32_e64 v28, s[62:63], v28, v30
	v_addc_co_u32_e64 v29, s[62:63], v29, v31, s[62:63]
	ds_write_b64 v62, v[28:29] offset:28696
.LBB1_152:                              ;   in Loop: Header=BB1_126 Depth=2
	s_or_b64 exec, exec, s[74:75]
	s_waitcnt lgkmcnt(0)
	s_barrier
	s_and_saveexec_b64 s[74:75], s[48:49]
	s_cbranch_execz .LBB1_154
; %bb.153:                              ;   in Loop: Header=BB1_126 Depth=2
	v_add_u32_e32 v50, v61, v60
	ds_read_b128 v[28:31], v50
	s_waitcnt lgkmcnt(0)
	v_add_co_u32_e64 v34, s[62:63], v30, v28
	v_addc_co_u32_e64 v35, s[62:63], v31, v29, s[62:63]
	v_mov_b32_e32 v32, v30
	v_mov_b32_e32 v33, v31
	ds_write_b128 v50, v[32:35]
.LBB1_154:                              ;   in Loop: Header=BB1_126 Depth=2
	s_or_b64 exec, exec, s[74:75]
	s_waitcnt lgkmcnt(0)
	s_barrier
	s_barrier
	ds_read_b64 v[55:56], v49 offset:29728
	s_waitcnt lgkmcnt(0)
	s_barrier
	ds_read_b64 v[28:29], v61
	s_waitcnt lgkmcnt(0)
	ds_write_b64 v27, v[28:29]
	s_and_saveexec_b64 s[62:63], s[60:61]
	s_cbranch_execz .LBB1_125
; %bb.155:                              ;   in Loop: Header=BB1_126 Depth=2
	v_mov_b32_e32 v27, s72
	ds_write_b64 v27, v[55:56] offset:28672
	s_branch .LBB1_125
.LBB1_156:                              ;   in Loop: Header=BB1_76 Depth=1
	s_waitcnt lgkmcnt(0)
	s_barrier
	s_and_saveexec_b64 s[62:63], s[54:55]
	s_cbranch_execz .LBB1_158
; %bb.157:                              ;   in Loop: Header=BB1_76 Depth=1
	buffer_load_dword v28, off, s[76:79], 0 offset:72 ; 4-byte Folded Reload
	s_waitcnt vmcnt(0)
	ds_read_b32 v27, v28 offset:4096
	s_waitcnt lgkmcnt(0)
	v_add_u16_sdwa v27, v27, v27 dst_sel:DWORD dst_unused:UNUSED_PAD src0_sel:WORD_1 src1_sel:DWORD
	ds_write_b16 v28, v27 offset:4098
.LBB1_158:                              ;   in Loop: Header=BB1_76 Depth=1
	s_or_b64 exec, exec, s[62:63]
	s_waitcnt lgkmcnt(0)
	s_barrier
	s_and_saveexec_b64 s[62:63], s[56:57]
	s_cbranch_execz .LBB1_160
; %bb.159:                              ;   in Loop: Header=BB1_76 Depth=1
	buffer_load_dword v27, off, s[76:79], 0 offset:56 ; 4-byte Folded Reload
	buffer_load_dword v29, off, s[76:79], 0 offset:60 ; 4-byte Folded Reload
	s_waitcnt vmcnt(1)
	ds_read_u16 v27, v27 offset:28670
	s_waitcnt vmcnt(0)
	ds_read_u16 v28, v29 offset:28670
	s_waitcnt lgkmcnt(0)
	v_add_u16_e32 v27, v28, v27
	ds_write_b16 v29, v27 offset:28670
.LBB1_160:                              ;   in Loop: Header=BB1_76 Depth=1
	s_or_b64 exec, exec, s[62:63]
	s_waitcnt lgkmcnt(0)
	s_barrier
	s_and_saveexec_b64 s[62:63], s[58:59]
	s_cbranch_execz .LBB1_162
; %bb.161:                              ;   in Loop: Header=BB1_76 Depth=1
	buffer_load_dword v27, off, s[76:79], 0 offset:64 ; 4-byte Folded Reload
	buffer_load_dword v29, off, s[76:79], 0 offset:68 ; 4-byte Folded Reload
	s_waitcnt vmcnt(1)
	ds_read_u16 v27, v27 offset:28670
	s_waitcnt vmcnt(0)
	ds_read_u16 v28, v29 offset:28670
	s_waitcnt lgkmcnt(0)
	v_add_u16_e32 v27, v28, v27
	ds_write_b16 v29, v27 offset:28670
.LBB1_162:                              ;   in Loop: Header=BB1_76 Depth=1
	s_or_b64 exec, exec, s[62:63]
	s_waitcnt lgkmcnt(0)
	s_barrier
	s_and_saveexec_b64 s[62:63], s[60:61]
	s_cbranch_execz .LBB1_164
; %bb.163:                              ;   in Loop: Header=BB1_76 Depth=1
	ds_read_u16 v27, v49 offset:28686
	ds_read_u16 v28, v49 offset:28702
	s_waitcnt lgkmcnt(0)
	v_add_u32_e32 v27, v28, v27
	ds_write_b16 v49, v27 offset:28702
.LBB1_164:                              ;   in Loop: Header=BB1_76 Depth=1
	s_or_b64 exec, exec, s[62:63]
	s_waitcnt lgkmcnt(0)
	s_barrier
	s_barrier
	s_and_saveexec_b64 s[62:63], s[60:61]
	s_cbranch_execz .LBB1_166
; %bb.165:                              ;   in Loop: Header=BB1_76 Depth=1
	ds_read_u16 v27, v49 offset:28702
	s_waitcnt lgkmcnt(0)
	ds_write_b16 v49, v27 offset:29736
	s_waitcnt lgkmcnt(0)
	ds_write_b16 v49, v49 offset:28702
	s_waitcnt lgkmcnt(0)
	ds_read_u16 v27, v49 offset:28702
	ds_read_u16 v28, v49 offset:28686
	s_waitcnt lgkmcnt(1)
	ds_write_b16 v49, v27 offset:28686
	s_waitcnt lgkmcnt(1)
	v_add_u32_e32 v27, v27, v28
	ds_write_b16 v49, v27 offset:28702
.LBB1_166:                              ;   in Loop: Header=BB1_76 Depth=1
	s_or_b64 exec, exec, s[62:63]
	s_waitcnt lgkmcnt(0)
	s_barrier
	s_and_saveexec_b64 s[62:63], s[58:59]
	s_cbranch_execz .LBB1_168
; %bb.167:                              ;   in Loop: Header=BB1_76 Depth=1
	buffer_load_dword v30, off, s[76:79], 0 offset:68 ; 4-byte Folded Reload
	buffer_load_dword v29, off, s[76:79], 0 offset:64 ; 4-byte Folded Reload
	s_waitcnt vmcnt(1)
	ds_read_u16 v27, v30 offset:28670
	s_waitcnt vmcnt(0)
	ds_read_u16 v28, v29 offset:28670
	s_waitcnt lgkmcnt(1)
	ds_write_b16 v29, v27 offset:28670
	s_waitcnt lgkmcnt(1)
	v_add_u16_e32 v27, v27, v28
	ds_write_b16 v30, v27 offset:28670
.LBB1_168:                              ;   in Loop: Header=BB1_76 Depth=1
	s_or_b64 exec, exec, s[62:63]
	s_waitcnt lgkmcnt(0)
	s_barrier
	s_and_saveexec_b64 s[62:63], s[56:57]
	s_cbranch_execz .LBB1_170
; %bb.169:                              ;   in Loop: Header=BB1_76 Depth=1
	buffer_load_dword v30, off, s[76:79], 0 offset:60 ; 4-byte Folded Reload
	buffer_load_dword v29, off, s[76:79], 0 offset:56 ; 4-byte Folded Reload
	s_waitcnt vmcnt(1)
	ds_read_u16 v27, v30 offset:28670
	s_waitcnt vmcnt(0)
	ds_read_u16 v28, v29 offset:28670
	s_waitcnt lgkmcnt(1)
	ds_write_b16 v29, v27 offset:28670
	s_waitcnt lgkmcnt(1)
	v_add_u16_e32 v27, v27, v28
	ds_write_b16 v30, v27 offset:28670
.LBB1_170:                              ;   in Loop: Header=BB1_76 Depth=1
	s_or_b64 exec, exec, s[62:63]
	s_waitcnt lgkmcnt(0)
	s_barrier
	s_and_saveexec_b64 s[62:63], s[54:55]
	s_cbranch_execz .LBB1_172
; %bb.171:                              ;   in Loop: Header=BB1_76 Depth=1
	buffer_load_dword v29, off, s[76:79], 0 offset:72 ; 4-byte Folded Reload
	s_waitcnt vmcnt(0)
	ds_read_b32 v27, v29 offset:4096
	s_waitcnt lgkmcnt(0)
	v_add_u16_sdwa v28, v27, v27 dst_sel:DWORD dst_unused:UNUSED_PAD src0_sel:WORD_1 src1_sel:DWORD
	v_alignbit_b32 v27, v28, v27, 16
	ds_write_b32 v29, v27 offset:4096
.LBB1_172:                              ;   in Loop: Header=BB1_76 Depth=1
	s_or_b64 exec, exec, s[62:63]
	buffer_load_dword v27, off, s[76:79], 0 offset:20 ; 4-byte Folded Reload
	buffer_load_dword v28, off, s[76:79], 0 offset:36 ; 4-byte Folded Reload
	s_waitcnt vmcnt(0) lgkmcnt(0)
	s_barrier
	s_barrier
	;; [unrolled: 1-line block ×3, first 2 shown]
	buffer_load_dword v30, off, s[76:79], 0 offset:4 ; 4-byte Folded Reload
	s_add_i32 s69, s69, 8
	s_cmp_ge_i32 s69, s70
	v_lshl_or_b32 v27, v27, 3, v28
	ds_read_u16 v27, v27 offset:28672
	s_waitcnt vmcnt(0)
	ds_read_u16 v28, v30
	s_waitcnt lgkmcnt(0)
	v_add_u16_e32 v29, 1, v28
	ds_write_b16 v30, v29
	buffer_load_dword v29, off, s[76:79], 0 offset:76 ; 4-byte Folded Reload
	buffer_load_dword v30, off, s[76:79], 0 offset:108 ; 4-byte Folded Reload
	;; [unrolled: 1-line block ×3, first 2 shown]
	v_and_b32_e32 v28, 0xffff, v28
	v_add_lshl_u32 v27, v28, v27, 2
	s_waitcnt vmcnt(1)
	v_lshl_or_b32 v29, v29, 3, v30
	ds_read_u16 v29, v29 offset:28672
	s_waitcnt vmcnt(0)
	ds_read_u16 v30, v32
	s_waitcnt lgkmcnt(0)
	v_add_u16_e32 v31, 1, v30
	ds_write_b16 v32, v31
	buffer_load_dword v31, off, s[76:79], 0 offset:124 ; 4-byte Folded Reload
	buffer_load_dword v32, off, s[76:79], 0 offset:132 ; 4-byte Folded Reload
	;; [unrolled: 1-line block ×3, first 2 shown]
	ds_write2st64_b32 v27, v4, v44 offset1:48
	v_and_b32_e32 v4, 0xffff, v30
	v_add_lshl_u32 v4, v4, v29, 2
	ds_write2st64_b32 v4, v5, v45 offset1:48
	s_waitcnt vmcnt(1)
	v_lshl_or_b32 v31, v31, 3, v32
	ds_read_u16 v31, v31 offset:28672
	s_waitcnt vmcnt(0)
	ds_read_u16 v32, v34
	s_waitcnt lgkmcnt(0)
	v_and_b32_e32 v4, 0xffff, v32
	v_add_u16_e32 v33, 1, v32
	v_add_lshl_u32 v4, v4, v31, 2
	ds_write_b16 v34, v33
	ds_write2st64_b32 v4, v6, v46 offset1:48
	buffer_load_dword v4, off, s[76:79], 0 offset:140 ; 4-byte Folded Reload
	buffer_load_dword v5, off, s[76:79], 0 offset:144 ; 4-byte Folded Reload
	;; [unrolled: 1-line block ×3, first 2 shown]
	s_waitcnt vmcnt(1)
	v_lshl_or_b32 v4, v4, 3, v5
	ds_read_u16 v4, v4 offset:28672
	s_waitcnt vmcnt(0)
	ds_read_u16 v5, v27
	s_waitcnt lgkmcnt(0)
	v_and_b32_e32 v6, 0xffff, v5
	v_add_lshl_u32 v4, v6, v4, 2
	ds_write2st64_b32 v4, v7, v47 offset1:48
	v_add_u16_e32 v4, 1, v5
	ds_write_b16 v27, v4
	buffer_load_dword v4, off, s[76:79], 0 offset:184 ; 4-byte Folded Reload
	buffer_load_dword v5, off, s[76:79], 0 offset:216 ; 4-byte Folded Reload
	;; [unrolled: 1-line block ×3, first 2 shown]
	s_waitcnt vmcnt(1)
	v_lshl_or_b32 v4, v4, 3, v5
	ds_read_u16 v4, v4 offset:28672
	s_waitcnt vmcnt(0)
	ds_read_u16 v5, v7
	s_waitcnt lgkmcnt(0)
	v_add_u16_e32 v6, 1, v5
	ds_write_b16 v7, v6
	buffer_load_dword v6, off, s[76:79], 0 offset:392 ; 4-byte Folded Reload
	buffer_load_dword v7, off, s[76:79], 0 offset:404 ; 4-byte Folded Reload
	v_and_b32_e32 v5, 0xffff, v5
	v_add_lshl_u32 v4, v5, v4, 2
	s_waitcnt vmcnt(0)
	v_lshl_or_b32 v6, v6, 3, v7
	ds_read_u16 v6, v6 offset:28672
	ds_read_u16 v7, v24
	s_waitcnt lgkmcnt(0)
	v_add_u16_e32 v27, 1, v7
	ds_write_b16 v24, v27
	buffer_load_dword v24, off, s[76:79], 0 offset:400 ; 4-byte Folded Reload
	buffer_load_dword v27, off, s[76:79], 0 offset:408 ; 4-byte Folded Reload
	s_waitcnt vmcnt(0)
	v_lshl_or_b32 v24, v24, 3, v27
	ds_read_u16 v24, v24 offset:28672
	ds_read_u16 v27, v26
	ds_write2st64_b32 v4, v12, v40 offset1:48
	v_and_b32_e32 v4, 0xffff, v7
	v_add_lshl_u32 v4, v4, v6, 2
	ds_write2st64_b32 v4, v13, v41 offset1:48
	s_waitcnt lgkmcnt(2)
	v_and_b32_e32 v4, 0xffff, v27
	v_add_u16_e32 v28, 1, v27
	v_add_lshl_u32 v4, v4, v24, 2
	ds_write_b16 v26, v28
	ds_write2st64_b32 v4, v14, v42 offset1:48
	buffer_load_dword v4, off, s[76:79], 0 offset:360 ; 4-byte Folded Reload
	buffer_load_dword v5, off, s[76:79], 0 offset:384 ; 4-byte Folded Reload
	;; [unrolled: 1-line block ×3, first 2 shown]
	s_waitcnt vmcnt(1)
	v_lshl_or_b32 v4, v4, 3, v5
	ds_read_u16 v4, v4 offset:28672
	s_waitcnt vmcnt(0)
	ds_read_u16 v5, v7
	s_waitcnt lgkmcnt(0)
	v_and_b32_e32 v6, 0xffff, v5
	v_add_lshl_u32 v4, v6, v4, 2
	ds_write2st64_b32 v4, v15, v43 offset1:48
	v_add_u16_e32 v4, 1, v5
	ds_write_b16 v7, v4
	buffer_load_dword v4, off, s[76:79], 0 offset:348 ; 4-byte Folded Reload
	buffer_load_dword v5, off, s[76:79], 0 offset:380 ; 4-byte Folded Reload
	;; [unrolled: 1-line block ×3, first 2 shown]
	s_waitcnt vmcnt(1)
	v_lshl_or_b32 v4, v4, 3, v5
	ds_read_u16 v4, v4 offset:28672
	s_waitcnt vmcnt(0)
	ds_read_u16 v5, v7
	s_waitcnt lgkmcnt(0)
	v_add_u16_e32 v6, 1, v5
	ds_write_b16 v7, v6
	buffer_load_dword v6, off, s[76:79], 0 offset:364 ; 4-byte Folded Reload
	buffer_load_dword v7, off, s[76:79], 0 offset:388 ; 4-byte Folded Reload
	;; [unrolled: 1-line block ×3, first 2 shown]
	v_and_b32_e32 v5, 0xffff, v5
	v_add_lshl_u32 v4, v5, v4, 2
	s_waitcnt vmcnt(1)
	v_lshl_or_b32 v6, v6, 3, v7
	ds_read_u16 v6, v6 offset:28672
	s_waitcnt vmcnt(0)
	ds_read_u16 v7, v13
	s_waitcnt lgkmcnt(0)
	v_add_u16_e32 v12, 1, v7
	ds_write_b16 v13, v12
	buffer_load_dword v12, off, s[76:79], 0 offset:372 ; 4-byte Folded Reload
	buffer_load_dword v13, off, s[76:79], 0 offset:396 ; 4-byte Folded Reload
	;; [unrolled: 1-line block ×3, first 2 shown]
	ds_write2st64_b32 v4, v20, v36 offset1:48
	v_and_b32_e32 v4, 0xffff, v7
	v_add_lshl_u32 v4, v4, v6, 2
	ds_write2st64_b32 v4, v21, v37 offset1:48
	s_waitcnt vmcnt(1)
	v_lshl_or_b32 v12, v12, 3, v13
	ds_read_u16 v12, v12 offset:28672
	s_waitcnt vmcnt(0)
	ds_read_u16 v13, v15
	s_waitcnt lgkmcnt(0)
	v_and_b32_e32 v4, 0xffff, v13
	v_add_u16_e32 v14, 1, v13
	v_add_lshl_u32 v4, v4, v12, 2
	ds_write_b16 v15, v14
	ds_write2st64_b32 v4, v22, v38 offset1:48
	buffer_load_dword v4, off, s[76:79], 0 offset:320 ; 4-byte Folded Reload
	buffer_load_dword v5, off, s[76:79], 0 offset:340 ; 4-byte Folded Reload
	;; [unrolled: 1-line block ×3, first 2 shown]
	s_waitcnt vmcnt(1)
	v_lshl_or_b32 v4, v4, 3, v5
	ds_read_u16 v4, v4 offset:28672
	s_waitcnt vmcnt(0)
	ds_read_u16 v5, v7
	s_waitcnt lgkmcnt(0)
	v_and_b32_e32 v6, 0xffff, v5
	v_add_lshl_u32 v4, v6, v4, 2
	ds_write2st64_b32 v4, v23, v39 offset1:48
	v_add_u16_e32 v4, 1, v5
	ds_write_b16 v7, v4
	buffer_load_dword v4, off, s[76:79], 0 offset:312 ; 4-byte Folded Reload
	buffer_load_dword v5, off, s[76:79], 0 offset:336 ; 4-byte Folded Reload
	;; [unrolled: 1-line block ×3, first 2 shown]
	s_waitcnt vmcnt(1)
	v_lshl_or_b32 v4, v4, 3, v5
	ds_read_u16 v4, v4 offset:28672
	s_waitcnt vmcnt(0)
	ds_read_u16 v5, v7
	s_waitcnt lgkmcnt(0)
	v_add_u16_e32 v6, 1, v5
	ds_write_b16 v7, v6
	buffer_load_dword v6, off, s[76:79], 0 offset:324 ; 4-byte Folded Reload
	buffer_load_dword v7, off, s[76:79], 0 offset:344 ; 4-byte Folded Reload
	;; [unrolled: 1-line block ×3, first 2 shown]
	v_and_b32_e32 v5, 0xffff, v5
	v_add_lshl_u32 v4, v5, v4, 2
	s_waitcnt vmcnt(1)
	v_lshl_or_b32 v6, v6, 3, v7
	ds_read_u16 v6, v6 offset:28672
	s_waitcnt vmcnt(0)
	ds_read_u16 v7, v13
	s_waitcnt lgkmcnt(0)
	v_add_u16_e32 v12, 1, v7
	ds_write_b16 v13, v12
	buffer_load_dword v12, off, s[76:79], 0 offset:332 ; 4-byte Folded Reload
	buffer_load_dword v13, off, s[76:79], 0 offset:356 ; 4-byte Folded Reload
	;; [unrolled: 1-line block ×3, first 2 shown]
	s_waitcnt vmcnt(1)
	v_lshl_or_b32 v12, v12, 3, v13
	s_waitcnt vmcnt(0)
	ds_read_u16 v13, v15
	ds_read_u16 v12, v12 offset:28672
	buffer_load_dword v21, off, s[76:79], 0 offset:264 ; 4-byte Folded Reload
	s_waitcnt lgkmcnt(1)
	v_add_u16_e32 v14, 1, v13
	ds_write_b16 v15, v14
	s_waitcnt vmcnt(0)
	ds_read_u16 v14, v21
	buffer_load_dword v15, off, s[76:79], 0 offset:292 ; 4-byte Folded Reload
	buffer_load_dword v20, off, s[76:79], 0 offset:300 ; 4-byte Folded Reload
	s_waitcnt vmcnt(0)
	v_lshl_or_b32 v15, v15, 3, v20
	s_waitcnt lgkmcnt(0)
	v_add_u16_e32 v20, 1, v14
	ds_read_u16 v15, v15 offset:28672
	ds_write_b16 v21, v20
	buffer_load_dword v20, off, s[76:79], 0 offset:268 ; 4-byte Folded Reload
	buffer_load_dword v21, off, s[76:79], 0 offset:296 ; 4-byte Folded Reload
	;; [unrolled: 1-line block ×3, first 2 shown]
	s_waitcnt vmcnt(1)
	v_lshl_or_b32 v20, v20, 3, v21
	ds_read_u16 v20, v20 offset:28672
	s_waitcnt vmcnt(0)
	ds_read_u16 v21, v22
	buffer_load_dword v26, off, s[76:79], 0 offset:412 ; 4-byte Folded Reload
	buffer_load_dword v27, off, s[76:79], 0 offset:416 ; 4-byte Folded Reload
	;; [unrolled: 1-line block ×4, first 2 shown]
	s_waitcnt vmcnt(3)
	ds_write2st64_b32 v4, v0, v26 offset1:48
	s_waitcnt lgkmcnt(1)
	v_add_u16_e32 v4, 1, v21
	ds_write_b16 v22, v4
	v_and_b32_e32 v0, 0xffff, v7
	buffer_load_dword v4, off, s[76:79], 0 offset:252 ; 4-byte Folded Reload
	buffer_load_dword v5, off, s[76:79], 0 offset:256 ; 4-byte Folded Reload
	v_add_lshl_u32 v0, v0, v6, 2
	buffer_load_dword v6, off, s[76:79], 0 offset:236 ; 4-byte Folded Reload
	s_waitcnt vmcnt(5)
	ds_write2st64_b32 v0, v1, v27 offset1:48
	v_and_b32_e32 v0, 0xffff, v13
	v_add_lshl_u32 v0, v0, v12, 2
	s_waitcnt vmcnt(4)
	ds_write2st64_b32 v0, v2, v28 offset1:48
	v_and_b32_e32 v2, 0xffff, v14
	v_add_lshl_u32 v2, v2, v15, 2
	s_waitcnt vmcnt(1)
	v_lshl_or_b32 v4, v4, 3, v5
	ds_read_u16 v4, v4 offset:28672
	s_waitcnt vmcnt(0)
	ds_read_u16 v5, v6
	s_waitcnt lgkmcnt(0)
	v_add_u16_e32 v0, 1, v5
	ds_write_b16 v6, v0
	buffer_load_dword v0, off, s[76:79], 0 offset:244 ; 4-byte Folded Reload
	buffer_load_dword v1, off, s[76:79], 0 offset:248 ; 4-byte Folded Reload
	;; [unrolled: 1-line block ×3, first 2 shown]
	ds_write2st64_b32 v2, v3, v29 offset1:48
	v_and_b32_e32 v2, 0xffff, v21
	v_add_lshl_u32 v2, v2, v20, 2
	s_waitcnt vmcnt(1)
	v_lshl_or_b32 v0, v0, 3, v1
	ds_read_u16 v0, v0 offset:28672
	s_waitcnt vmcnt(0)
	ds_read_u16 v1, v6
	s_waitcnt lgkmcnt(0)
	v_add_u16_e32 v3, 1, v1
	ds_write_b16 v6, v3
	buffer_load_dword v3, off, s[76:79], 0 offset:228 ; 4-byte Folded Reload
	buffer_load_dword v6, off, s[76:79], 0 offset:240 ; 4-byte Folded Reload
	buffer_load_dword v7, off, s[76:79], 0 offset:204 ; 4-byte Folded Reload
	v_and_b32_e32 v1, 0xffff, v1
	v_add_lshl_u32 v0, v1, v0, 2
	s_waitcnt vmcnt(1)
	v_lshl_or_b32 v3, v3, 3, v6
	ds_read_u16 v3, v3 offset:28672
	s_waitcnt vmcnt(0)
	ds_read_u16 v6, v7
	buffer_load_dword v12, off, s[76:79], 0 offset:272 ; 4-byte Folded Reload
	buffer_load_dword v13, off, s[76:79], 0 offset:276 ; 4-byte Folded Reload
	;; [unrolled: 1-line block ×4, first 2 shown]
	s_waitcnt vmcnt(3)
	ds_write2st64_b32 v2, v8, v12 offset1:48
	v_and_b32_e32 v2, 0xffff, v5
	v_add_lshl_u32 v2, v2, v4, 2
	s_waitcnt lgkmcnt(1)
	v_add_u16_e32 v4, 1, v6
	ds_write_b16 v7, v4
	buffer_load_dword v4, off, s[76:79], 0 offset:212 ; 4-byte Folded Reload
	buffer_load_dword v5, off, s[76:79], 0 offset:232 ; 4-byte Folded Reload
	;; [unrolled: 1-line block ×3, first 2 shown]
	s_waitcnt vmcnt(5)
	ds_write2st64_b32 v2, v9, v13 offset1:48
	s_waitcnt vmcnt(4)
	ds_write2st64_b32 v0, v10, v14 offset1:48
	v_and_b32_e32 v2, 0xffff, v6
	v_add_lshl_u32 v2, v2, v3, 2
	s_waitcnt vmcnt(1)
	v_lshl_or_b32 v4, v4, 3, v5
	ds_read_u16 v4, v4 offset:28672
	s_waitcnt vmcnt(0)
	ds_read_u16 v5, v7
	s_waitcnt lgkmcnt(0)
	v_add_u16_e32 v0, 1, v5
	ds_write_b16 v7, v0
	buffer_load_dword v0, off, s[76:79], 0 offset:200 ; 4-byte Folded Reload
	buffer_load_dword v1, off, s[76:79], 0 offset:220 ; 4-byte Folded Reload
	;; [unrolled: 1-line block ×3, first 2 shown]
	ds_write2st64_b32 v2, v11, v15 offset1:48
	v_and_b32_e32 v2, 0xffff, v5
	v_add_lshl_u32 v2, v2, v4, 2
	s_waitcnt vmcnt(1)
	v_lshl_or_b32 v0, v0, 3, v1
	ds_read_u16 v0, v0 offset:28672
	s_waitcnt vmcnt(0)
	ds_read_u16 v1, v7
	s_waitcnt lgkmcnt(0)
	v_add_u16_e32 v3, 1, v1
	ds_write_b16 v7, v3
	buffer_load_dword v3, off, s[76:79], 0 offset:164 ; 4-byte Folded Reload
	buffer_load_dword v5, off, s[76:79], 0 offset:208 ; 4-byte Folded Reload
	buffer_load_dword v6, off, s[76:79], 0 offset:152 ; 4-byte Folded Reload
	v_and_b32_e32 v1, 0xffff, v1
	v_add_lshl_u32 v0, v1, v0, 2
	s_waitcnt vmcnt(1)
	v_lshl_or_b32 v3, v3, 3, v5
	ds_read_u16 v3, v3 offset:28672
	s_waitcnt vmcnt(0)
	ds_read_u16 v5, v6
	buffer_load_dword v7, off, s[76:79], 0 offset:168 ; 4-byte Folded Reload
	buffer_load_dword v8, off, s[76:79], 0 offset:172 ; 4-byte Folded Reload
	;; [unrolled: 1-line block ×4, first 2 shown]
	s_waitcnt lgkmcnt(0)
	v_add_u16_e32 v1, 1, v5
	ds_write_b16 v6, v1
	s_waitcnt vmcnt(3)
	ds_write2st64_b32 v2, v16, v7 offset1:48
	buffer_load_dword v1, off, s[76:79], 0 offset:156 ; 4-byte Folded Reload
	buffer_load_dword v2, off, s[76:79], 0 offset:196 ; 4-byte Folded Reload
	;; [unrolled: 1-line block ×3, first 2 shown]
	s_waitcnt vmcnt(5)
	ds_write2st64_b32 v0, v17, v8 offset1:48
	v_and_b32_e32 v0, 0xffff, v5
	v_add_lshl_u32 v0, v0, v3, 2
	s_waitcnt vmcnt(4)
	ds_write2st64_b32 v0, v18, v9 offset1:48
	s_waitcnt vmcnt(1)
	v_lshl_or_b32 v1, v1, 3, v2
	ds_read_u16 v1, v1 offset:28672
	s_waitcnt vmcnt(0)
	ds_read_u16 v2, v4
	s_waitcnt lgkmcnt(0)
	v_add_u16_e32 v0, 1, v2
	ds_write_b16 v4, v0
	v_and_b32_e32 v0, 0xffff, v2
	v_add_lshl_u32 v0, v0, v1, 2
	ds_write2st64_b32 v0, v19, v10 offset1:48
	s_waitcnt lgkmcnt(0)
	s_barrier
	buffer_load_dword v7, off, s[76:79], 0 offset:52 ; 4-byte Folded Reload
	s_waitcnt vmcnt(0)
	ds_read_b128 v[38:41], v7
	ds_read_b128 v[13:16], v7 offset:16
	ds_read_b128 v[17:20], v7 offset:32
	ds_read_b128 v[8:11], v7 offset:48
	buffer_load_dword v0, off, s[76:79], 0  ; 4-byte Folded Reload
	s_waitcnt vmcnt(0)
	ds_read_b128 v[1:4], v0
	ds_read_b128 v[34:37], v0 offset:16
	ds_read_b128 v[21:24], v0 offset:32
	s_waitcnt lgkmcnt(0)
	buffer_store_dword v21, off, s[76:79], 0 offset:4 ; 4-byte Folded Spill
	s_nop 0
	buffer_store_dword v22, off, s[76:79], 0 offset:8 ; 4-byte Folded Spill
	buffer_store_dword v23, off, s[76:79], 0 offset:12 ; 4-byte Folded Spill
	;; [unrolled: 1-line block ×3, first 2 shown]
	ds_read_b128 v[26:29], v0 offset:48
	ds_read_b128 v[21:24], v7 offset:64
	;; [unrolled: 1-line block ×4, first 2 shown]
	s_waitcnt lgkmcnt(0)
	buffer_store_dword v30, off, s[76:79], 0 offset:20 ; 4-byte Folded Spill
	s_nop 0
	buffer_store_dword v31, off, s[76:79], 0 offset:24 ; 4-byte Folded Spill
	buffer_store_dword v32, off, s[76:79], 0 offset:28 ; 4-byte Folded Spill
	;; [unrolled: 1-line block ×3, first 2 shown]
	ds_read_b128 v[30:33], v0 offset:80
	s_waitcnt lgkmcnt(0)
	buffer_store_dword v30, off, s[76:79], 0 offset:36 ; 4-byte Folded Spill
	s_nop 0
	buffer_store_dword v31, off, s[76:79], 0 offset:40 ; 4-byte Folded Spill
	buffer_store_dword v32, off, s[76:79], 0 offset:44 ; 4-byte Folded Spill
	buffer_store_dword v33, off, s[76:79], 0 offset:48 ; 4-byte Folded Spill
	s_cbranch_scc1 .LBB1_174
; %bb.173:                              ;   in Loop: Header=BB1_76 Depth=1
	buffer_store_dword v34, off, s[76:79], 0 offset:108 ; 4-byte Folded Spill
	s_nop 0
	buffer_store_dword v35, off, s[76:79], 0 offset:112 ; 4-byte Folded Spill
	buffer_store_dword v36, off, s[76:79], 0 offset:116 ; 4-byte Folded Spill
	buffer_store_dword v37, off, s[76:79], 0 offset:120 ; 4-byte Folded Spill
	buffer_store_dword v1, off, s[76:79], 0 offset:92 ; 4-byte Folded Spill
	s_nop 0
	buffer_store_dword v2, off, s[76:79], 0 offset:96 ; 4-byte Folded Spill
	buffer_store_dword v3, off, s[76:79], 0 offset:100 ; 4-byte Folded Spill
	buffer_store_dword v4, off, s[76:79], 0 offset:104 ; 4-byte Folded Spill
	;; [unrolled: 5-line block ×3, first 2 shown]
	v_mov_b32_e32 v1, v8
	v_mov_b32_e32 v2, v9
	;; [unrolled: 1-line block ×8, first 2 shown]
	s_branch .LBB1_76
.LBB1_174:
	buffer_load_dword v57, off, s[76:79], 0 offset:4 ; 4-byte Folded Reload
	buffer_load_dword v58, off, s[76:79], 0 offset:8 ; 4-byte Folded Reload
	;; [unrolled: 1-line block ×12, first 2 shown]
	v_mov_b32_e32 v56, v4
	v_mov_b32_e32 v55, v3
	;; [unrolled: 1-line block ×12, first 2 shown]
	s_and_saveexec_b64 s[48:49], vcc
	s_cbranch_execz .LBB1_52
.LBB1_175:
	global_store_dword v7, v9, s[64:65]
	global_store_dword v7, v53, s[66:67]
	s_or_b64 exec, exec, s[48:49]
	s_and_saveexec_b64 s[48:49], s[0:1]
	s_cbranch_execz .LBB1_53
.LBB1_176:
	global_store_dword v7, v10, s[64:65] offset:4
	global_store_dword v7, v54, s[66:67] offset:4
	s_or_b64 exec, exec, s[48:49]
	s_and_saveexec_b64 s[0:1], s[2:3]
	s_cbranch_execz .LBB1_54
.LBB1_177:
	global_store_dword v7, v11, s[64:65] offset:8
	global_store_dword v7, v55, s[66:67] offset:8
	s_or_b64 exec, exec, s[0:1]
	s_and_saveexec_b64 s[0:1], s[4:5]
	s_cbranch_execz .LBB1_55
.LBB1_178:
	global_store_dword v7, v12, s[64:65] offset:12
	global_store_dword v7, v56, s[66:67] offset:12
	s_or_b64 exec, exec, s[0:1]
	s_and_saveexec_b64 s[0:1], s[6:7]
	s_cbranch_execz .LBB1_56
.LBB1_179:
	global_store_dword v7, v13, s[64:65] offset:16
	global_store_dword v7, v34, s[66:67] offset:16
	s_or_b64 exec, exec, s[0:1]
	s_and_saveexec_b64 s[0:1], s[8:9]
	s_cbranch_execz .LBB1_57
.LBB1_180:
	global_store_dword v7, v14, s[64:65] offset:20
	global_store_dword v7, v35, s[66:67] offset:20
	s_or_b64 exec, exec, s[0:1]
	s_and_saveexec_b64 s[0:1], s[10:11]
	s_cbranch_execz .LBB1_58
.LBB1_181:
	global_store_dword v7, v15, s[64:65] offset:24
	global_store_dword v7, v36, s[66:67] offset:24
	s_or_b64 exec, exec, s[0:1]
	s_and_saveexec_b64 s[0:1], s[12:13]
	s_cbranch_execz .LBB1_59
.LBB1_182:
	global_store_dword v7, v16, s[64:65] offset:28
	global_store_dword v7, v37, s[66:67] offset:28
	s_or_b64 exec, exec, s[0:1]
	s_and_saveexec_b64 s[0:1], s[14:15]
	s_cbranch_execz .LBB1_60
.LBB1_183:
	global_store_dword v7, v17, s[64:65] offset:32
	s_waitcnt vmcnt(12)
	global_store_dword v7, v57, s[66:67] offset:32
	s_or_b64 exec, exec, s[0:1]
	s_and_saveexec_b64 s[0:1], s[16:17]
	s_cbranch_execz .LBB1_61
.LBB1_184:
	global_store_dword v7, v18, s[64:65] offset:36
	s_waitcnt vmcnt(11)
	global_store_dword v7, v58, s[66:67] offset:36
	s_or_b64 exec, exec, s[0:1]
	s_and_saveexec_b64 s[0:1], s[18:19]
	s_cbranch_execz .LBB1_62
.LBB1_185:
	global_store_dword v7, v19, s[64:65] offset:40
	s_waitcnt vmcnt(10)
	global_store_dword v7, v59, s[66:67] offset:40
	s_or_b64 exec, exec, s[0:1]
	s_and_saveexec_b64 s[0:1], s[20:21]
	s_cbranch_execz .LBB1_63
.LBB1_186:
	global_store_dword v7, v20, s[64:65] offset:44
	s_waitcnt vmcnt(9)
	global_store_dword v7, v60, s[66:67] offset:44
	s_or_b64 exec, exec, s[0:1]
	s_and_saveexec_b64 s[0:1], s[22:23]
	s_cbranch_execz .LBB1_64
.LBB1_187:
	global_store_dword v7, v1, s[64:65] offset:48
	global_store_dword v7, v26, s[66:67] offset:48
	s_or_b64 exec, exec, s[0:1]
	s_and_saveexec_b64 s[0:1], s[24:25]
	s_cbranch_execz .LBB1_65
.LBB1_188:
	global_store_dword v7, v2, s[64:65] offset:52
	global_store_dword v7, v27, s[66:67] offset:52
	s_or_b64 exec, exec, s[0:1]
	s_and_saveexec_b64 s[0:1], s[26:27]
	s_cbranch_execz .LBB1_66
.LBB1_189:
	global_store_dword v7, v3, s[64:65] offset:56
	global_store_dword v7, v28, s[66:67] offset:56
	s_or_b64 exec, exec, s[0:1]
	s_and_saveexec_b64 s[0:1], s[28:29]
	s_cbranch_execz .LBB1_67
.LBB1_190:
	global_store_dword v7, v4, s[64:65] offset:60
	global_store_dword v7, v29, s[66:67] offset:60
	s_or_b64 exec, exec, s[0:1]
	s_and_saveexec_b64 s[0:1], s[30:31]
	s_cbranch_execz .LBB1_68
.LBB1_191:
	global_store_dword v7, v21, s[64:65] offset:64
	s_waitcnt vmcnt(8)
	global_store_dword v7, v49, s[66:67] offset:64
	s_or_b64 exec, exec, s[0:1]
	s_and_saveexec_b64 s[0:1], s[34:35]
	s_cbranch_execz .LBB1_69
.LBB1_192:
	global_store_dword v7, v22, s[64:65] offset:68
	s_waitcnt vmcnt(7)
	global_store_dword v7, v50, s[66:67] offset:68
	s_or_b64 exec, exec, s[0:1]
	s_and_saveexec_b64 s[0:1], s[36:37]
	s_cbranch_execz .LBB1_70
.LBB1_193:
	global_store_dword v7, v23, s[64:65] offset:72
	s_waitcnt vmcnt(6)
	global_store_dword v7, v51, s[66:67] offset:72
	s_or_b64 exec, exec, s[0:1]
	s_and_saveexec_b64 s[0:1], s[38:39]
	s_cbranch_execz .LBB1_71
.LBB1_194:
	global_store_dword v7, v24, s[64:65] offset:76
	s_waitcnt vmcnt(5)
	global_store_dword v7, v52, s[66:67] offset:76
	s_or_b64 exec, exec, s[0:1]
	s_and_saveexec_b64 s[0:1], s[40:41]
	s_cbranch_execz .LBB1_72
.LBB1_195:
	global_store_dword v7, v42, s[64:65] offset:80
	s_waitcnt vmcnt(4)
	global_store_dword v7, v30, s[66:67] offset:80
	s_or_b64 exec, exec, s[0:1]
	s_and_saveexec_b64 s[0:1], s[42:43]
	s_cbranch_execz .LBB1_73
.LBB1_196:
	global_store_dword v7, v43, s[64:65] offset:84
	s_waitcnt vmcnt(3)
	global_store_dword v7, v31, s[66:67] offset:84
	s_or_b64 exec, exec, s[0:1]
	s_and_saveexec_b64 s[0:1], s[44:45]
	s_cbranch_execz .LBB1_74
.LBB1_197:
	global_store_dword v7, v44, s[64:65] offset:88
	s_waitcnt vmcnt(2)
	global_store_dword v7, v32, s[66:67] offset:88
	s_or_b64 exec, exec, s[0:1]
	s_and_saveexec_b64 s[0:1], s[46:47]
	s_cbranch_execz .LBB1_1
.LBB1_198:
	global_store_dword v7, v45, s[64:65] offset:92
	s_waitcnt vmcnt(1)
	global_store_dword v7, v33, s[66:67] offset:92
	s_endpgm
	.section	.rodata,"a",@progbits
	.p2align	6, 0x0
	.amdhsa_kernel SortSinglePassKVKernel
		.amdhsa_group_segment_fixed_size 29744
		.amdhsa_private_segment_fixed_size 448
		.amdhsa_kernarg_size 44
		.amdhsa_user_sgpr_count 6
		.amdhsa_user_sgpr_private_segment_buffer 1
		.amdhsa_user_sgpr_dispatch_ptr 0
		.amdhsa_user_sgpr_queue_ptr 0
		.amdhsa_user_sgpr_kernarg_segment_ptr 1
		.amdhsa_user_sgpr_dispatch_id 0
		.amdhsa_user_sgpr_flat_scratch_init 0
		.amdhsa_user_sgpr_private_segment_size 0
		.amdhsa_uses_dynamic_stack 0
		.amdhsa_system_sgpr_private_segment_wavefront_offset 1
		.amdhsa_system_sgpr_workgroup_id_x 1
		.amdhsa_system_sgpr_workgroup_id_y 0
		.amdhsa_system_sgpr_workgroup_id_z 0
		.amdhsa_system_sgpr_workgroup_info 0
		.amdhsa_system_vgpr_workitem_id 0
		.amdhsa_next_free_vgpr 64
		.amdhsa_next_free_sgpr 80
		.amdhsa_reserve_vcc 1
		.amdhsa_reserve_flat_scratch 0
		.amdhsa_float_round_mode_32 0
		.amdhsa_float_round_mode_16_64 0
		.amdhsa_float_denorm_mode_32 3
		.amdhsa_float_denorm_mode_16_64 3
		.amdhsa_dx10_clamp 1
		.amdhsa_ieee_mode 1
		.amdhsa_fp16_overflow 0
		.amdhsa_exception_fp_ieee_invalid_op 0
		.amdhsa_exception_fp_denorm_src 0
		.amdhsa_exception_fp_ieee_div_zero 0
		.amdhsa_exception_fp_ieee_overflow 0
		.amdhsa_exception_fp_ieee_underflow 0
		.amdhsa_exception_fp_ieee_inexact 0
		.amdhsa_exception_int_div_zero 0
	.end_amdhsa_kernel
	.text
.Lfunc_end1:
	.size	SortSinglePassKVKernel, .Lfunc_end1-SortSinglePassKVKernel
                                        ; -- End function
	.set SortSinglePassKVKernel.num_vgpr, 64
	.set SortSinglePassKVKernel.num_agpr, 0
	.set SortSinglePassKVKernel.numbered_sgpr, 80
	.set SortSinglePassKVKernel.num_named_barrier, 0
	.set SortSinglePassKVKernel.private_seg_size, 448
	.set SortSinglePassKVKernel.uses_vcc, 1
	.set SortSinglePassKVKernel.uses_flat_scratch, 0
	.set SortSinglePassKVKernel.has_dyn_sized_stack, 0
	.set SortSinglePassKVKernel.has_recursion, 0
	.set SortSinglePassKVKernel.has_indirect_call, 0
	.section	.AMDGPU.csdata,"",@progbits
; Kernel info:
; codeLenInByte = 16340
; TotalNumSgprs: 84
; NumVgprs: 64
; ScratchSize: 448
; MemoryBound: 0
; FloatMode: 240
; IeeeMode: 1
; LDSByteSize: 29744 bytes/workgroup (compile time only)
; SGPRBlocks: 10
; VGPRBlocks: 15
; NumSGPRsForWavesPerEU: 84
; NumVGPRsForWavesPerEU: 64
; Occupancy: 4
; WaveLimiterHint : 0
; COMPUTE_PGM_RSRC2:SCRATCH_EN: 1
; COMPUTE_PGM_RSRC2:USER_SGPR: 6
; COMPUTE_PGM_RSRC2:TRAP_HANDLER: 0
; COMPUTE_PGM_RSRC2:TGID_X_EN: 1
; COMPUTE_PGM_RSRC2:TGID_Y_EN: 0
; COMPUTE_PGM_RSRC2:TGID_Z_EN: 0
; COMPUTE_PGM_RSRC2:TIDIG_COMP_CNT: 0
	.text
	.protected	GHistogram              ; -- Begin function GHistogram
	.globl	GHistogram
	.p2align	8
	.type	GHistogram,@function
GHistogram:                             ; @GHistogram
; %bb.0:
	s_movk_i32 s0, 0x100
	v_cmp_gt_u32_e64 s[0:1], s0, v0
	v_lshlrev_b32_e32 v3, 2, v0
	s_and_saveexec_b64 s[2:3], s[0:1]
	s_cbranch_execz .LBB2_2
; %bb.1:
	v_mov_b32_e32 v1, 0
	ds_write2st64_b32 v3, v1, v1 offset1:4
	ds_write2st64_b32 v3, v1, v1 offset0:8 offset1:12
.LBB2_2:
	s_or_b64 exec, exec, s[2:3]
	s_load_dword s12, s[4:5], 0x8
	s_load_dwordx2 s[6:7], s[4:5], 0x0
	s_load_dword s13, s[4:5], 0x18
	s_load_dwordx2 s[8:9], s[4:5], 0x20
	v_cmp_eq_u32_e64 s[2:3], 0, v0
	s_waitcnt lgkmcnt(0)
	s_add_i32 s10, s12, 0x7ff
	s_lshr_b32 s14, s10, 11
	v_lshlrev_b32_e32 v4, 3, v0
	s_add_i32 s15, s13, 8
	s_add_i32 s16, s13, 16
	;; [unrolled: 1-line block ×3, first 2 shown]
	v_mov_b32_e32 v5, -1
	v_mov_b32_e32 v2, 0
	s_branch .LBB2_5
.LBB2_3:                                ;   in Loop: Header=BB2_5 Depth=1
	s_or_b64 exec, exec, s[10:11]
	s_mov_b64 s[10:11], 0
	s_waitcnt lgkmcnt(0)
	s_barrier
.LBB2_4:                                ;   in Loop: Header=BB2_5 Depth=1
	s_and_b64 vcc, exec, s[10:11]
	s_cbranch_vccnz .LBB2_24
.LBB2_5:                                ; =>This Inner Loop Header: Depth=1
	s_and_saveexec_b64 s[10:11], s[2:3]
	s_cbranch_execz .LBB2_7
; %bb.6:                                ;   in Loop: Header=BB2_5 Depth=1
	global_atomic_inc v1, v2, v5, s[8:9] glc
	s_waitcnt vmcnt(0)
	ds_write_b32 v2, v1 offset:4096
.LBB2_7:                                ;   in Loop: Header=BB2_5 Depth=1
	s_or_b64 exec, exec, s[10:11]
	s_waitcnt lgkmcnt(0)
	s_barrier
	ds_read_b32 v1, v2 offset:4096
	s_mov_b64 s[10:11], -1
	s_waitcnt lgkmcnt(0)
	v_cmp_le_u32_e32 vcc, s14, v1
	s_cbranch_vccnz .LBB2_4
; %bb.8:                                ;   in Loop: Header=BB2_5 Depth=1
	v_lshl_add_u32 v1, v1, 11, v4
	v_cmp_gt_u32_e32 vcc, s12, v1
	s_and_saveexec_b64 s[10:11], vcc
	s_cbranch_execz .LBB2_10
; %bb.9:                                ;   in Loop: Header=BB2_5 Depth=1
	v_lshlrev_b64 v[6:7], 2, v[1:2]
	v_mov_b32_e32 v8, s7
	v_add_co_u32_e32 v6, vcc, s6, v6
	v_addc_co_u32_e32 v7, vcc, v8, v7, vcc
	global_load_dword v6, v[6:7], off
	s_waitcnt vmcnt(0)
	v_bfe_u32 v7, v6, s13, 8
	v_bfe_u32 v8, v6, s15, 8
	;; [unrolled: 1-line block ×3, first 2 shown]
	v_lshlrev_b32_e32 v7, 2, v7
	v_bfe_u32 v6, v6, s17, 8
	v_lshlrev_b32_e32 v8, 2, v8
	v_lshlrev_b32_e32 v9, 2, v9
	ds_inc_u32 v7, v5
	ds_inc_u32 v8, v5 offset:1024
	ds_inc_u32 v9, v5 offset:2048
	v_lshlrev_b32_e32 v6, 2, v6
	ds_inc_u32 v6, v5 offset:3072
.LBB2_10:                               ;   in Loop: Header=BB2_5 Depth=1
	s_or_b64 exec, exec, s[10:11]
	v_or_b32_e32 v6, 1, v1
	v_cmp_gt_u32_e32 vcc, s12, v6
	s_and_saveexec_b64 s[10:11], vcc
	s_cbranch_execz .LBB2_12
; %bb.11:                               ;   in Loop: Header=BB2_5 Depth=1
	v_lshlrev_b64 v[6:7], 2, v[1:2]
	v_mov_b32_e32 v8, s7
	v_add_co_u32_e32 v6, vcc, s6, v6
	v_addc_co_u32_e32 v7, vcc, v8, v7, vcc
	global_load_dword v6, v[6:7], off offset:4
	s_waitcnt vmcnt(0)
	v_bfe_u32 v7, v6, s13, 8
	v_bfe_u32 v8, v6, s15, 8
	v_bfe_u32 v9, v6, s16, 8
	v_lshlrev_b32_e32 v7, 2, v7
	v_bfe_u32 v6, v6, s17, 8
	v_lshlrev_b32_e32 v8, 2, v8
	v_lshlrev_b32_e32 v9, 2, v9
	ds_inc_u32 v7, v5
	ds_inc_u32 v8, v5 offset:1024
	ds_inc_u32 v9, v5 offset:2048
	v_lshlrev_b32_e32 v6, 2, v6
	ds_inc_u32 v6, v5 offset:3072
.LBB2_12:                               ;   in Loop: Header=BB2_5 Depth=1
	s_or_b64 exec, exec, s[10:11]
	v_or_b32_e32 v6, 2, v1
	v_cmp_gt_u32_e32 vcc, s12, v6
	s_and_saveexec_b64 s[10:11], vcc
	s_cbranch_execz .LBB2_14
; %bb.13:                               ;   in Loop: Header=BB2_5 Depth=1
	v_lshlrev_b64 v[6:7], 2, v[1:2]
	v_mov_b32_e32 v8, s7
	v_add_co_u32_e32 v6, vcc, s6, v6
	v_addc_co_u32_e32 v7, vcc, v8, v7, vcc
	global_load_dword v6, v[6:7], off offset:8
	s_waitcnt vmcnt(0)
	v_bfe_u32 v7, v6, s13, 8
	v_bfe_u32 v8, v6, s15, 8
	v_bfe_u32 v9, v6, s16, 8
	v_lshlrev_b32_e32 v7, 2, v7
	v_bfe_u32 v6, v6, s17, 8
	v_lshlrev_b32_e32 v8, 2, v8
	v_lshlrev_b32_e32 v9, 2, v9
	ds_inc_u32 v7, v5
	ds_inc_u32 v8, v5 offset:1024
	ds_inc_u32 v9, v5 offset:2048
	v_lshlrev_b32_e32 v6, 2, v6
	ds_inc_u32 v6, v5 offset:3072
.LBB2_14:                               ;   in Loop: Header=BB2_5 Depth=1
	;; [unrolled: 25-line block ×6, first 2 shown]
	s_or_b64 exec, exec, s[10:11]
	v_or_b32_e32 v6, 7, v1
	v_cmp_gt_u32_e32 vcc, s12, v6
	s_and_saveexec_b64 s[10:11], vcc
	s_cbranch_execz .LBB2_3
; %bb.23:                               ;   in Loop: Header=BB2_5 Depth=1
	v_lshlrev_b64 v[6:7], 2, v[1:2]
	v_mov_b32_e32 v1, s7
	v_add_co_u32_e32 v6, vcc, s6, v6
	v_addc_co_u32_e32 v7, vcc, v1, v7, vcc
	global_load_dword v1, v[6:7], off offset:28
	s_waitcnt vmcnt(0)
	v_bfe_u32 v6, v1, s13, 8
	v_bfe_u32 v7, v1, s15, 8
	;; [unrolled: 1-line block ×3, first 2 shown]
	v_lshlrev_b32_e32 v6, 2, v6
	v_bfe_u32 v1, v1, s17, 8
	v_lshlrev_b32_e32 v7, 2, v7
	v_lshlrev_b32_e32 v8, 2, v8
	ds_inc_u32 v6, v5
	ds_inc_u32 v7, v5 offset:1024
	ds_inc_u32 v8, v5 offset:2048
	v_lshlrev_b32_e32 v1, 2, v1
	ds_inc_u32 v1, v5 offset:3072
	s_branch .LBB2_3
.LBB2_24:
	s_movk_i32 s2, 0x100
	v_cmp_gt_u32_e32 vcc, s2, v0
	v_mov_b32_e32 v1, 0
	s_and_saveexec_b64 s[2:3], vcc
; %bb.25:
	ds_read_b32 v1, v3
; %bb.26:
	s_or_b64 exec, exec, s[2:3]
	s_movk_i32 s2, 0xff00
	v_add_u32_e32 v4, 0xffffff00, v0
	v_cmp_lt_u32_e64 s[2:3], s2, v4
	s_waitcnt lgkmcnt(0)
	v_mov_b32_e32 v2, v1
	s_and_saveexec_b64 s[6:7], s[2:3]
	s_cbranch_execz .LBB2_28
; %bb.27:
	v_add_u32_e32 v2, -4, v3
	ds_read_b32 v2, v2
	s_waitcnt lgkmcnt(0)
	v_add_u32_e32 v2, v2, v1
.LBB2_28:
	s_or_b64 exec, exec, s[6:7]
	s_barrier
	s_and_saveexec_b64 s[6:7], vcc
; %bb.29:
	ds_write_b32 v3, v2
; %bb.30:
	s_or_b64 exec, exec, s[6:7]
	s_movk_i32 s6, 0xff01
	v_cmp_lt_u32_e64 s[6:7], s6, v4
	s_waitcnt lgkmcnt(0)
	s_barrier
	s_and_saveexec_b64 s[8:9], s[6:7]
	s_cbranch_execz .LBB2_32
; %bb.31:
	v_add_u32_e32 v5, -8, v3
	ds_read_b32 v5, v5
	s_waitcnt lgkmcnt(0)
	v_add_u32_e32 v2, v5, v2
.LBB2_32:
	s_or_b64 exec, exec, s[8:9]
	s_barrier
	s_and_saveexec_b64 s[8:9], vcc
; %bb.33:
	ds_write_b32 v3, v2
; %bb.34:
	s_or_b64 exec, exec, s[8:9]
	s_movk_i32 s8, 0xff03
	v_cmp_lt_u32_e64 s[8:9], s8, v4
	s_waitcnt lgkmcnt(0)
	s_barrier
	;; [unrolled: 19-line block ×3, first 2 shown]
	s_and_saveexec_b64 s[12:13], s[10:11]
	s_cbranch_execz .LBB2_40
; %bb.39:
	v_subrev_u32_e32 v5, 32, v3
	ds_read_b32 v5, v5
	s_waitcnt lgkmcnt(0)
	v_add_u32_e32 v2, v5, v2
.LBB2_40:
	s_or_b64 exec, exec, s[12:13]
	s_barrier
	s_and_saveexec_b64 s[12:13], vcc
; %bb.41:
	ds_write_b32 v3, v2
; %bb.42:
	s_or_b64 exec, exec, s[12:13]
	s_movk_i32 s12, 0xff0f
	v_cmp_lt_u32_e64 s[12:13], s12, v4
	s_waitcnt lgkmcnt(0)
	s_barrier
	s_and_saveexec_b64 s[14:15], s[12:13]
	s_cbranch_execz .LBB2_44
; %bb.43:
	v_subrev_u32_e32 v5, 64, v3
	ds_read_b32 v5, v5
	s_waitcnt lgkmcnt(0)
	v_add_u32_e32 v2, v5, v2
.LBB2_44:
	s_or_b64 exec, exec, s[14:15]
	s_barrier
	s_and_saveexec_b64 s[14:15], vcc
; %bb.45:
	ds_write_b32 v3, v2
; %bb.46:
	s_or_b64 exec, exec, s[14:15]
	s_movk_i32 s14, 0xff1f
	v_cmp_lt_u32_e64 s[14:15], s14, v4
	s_waitcnt lgkmcnt(0)
	s_barrier
	s_and_saveexec_b64 s[16:17], s[14:15]
	s_cbranch_execz .LBB2_48
; %bb.47:
	v_add_u32_e32 v5, 0xffffff80, v3
	ds_read_b32 v5, v5
	s_waitcnt lgkmcnt(0)
	v_add_u32_e32 v2, v5, v2
.LBB2_48:
	s_or_b64 exec, exec, s[16:17]
	s_barrier
	s_and_saveexec_b64 s[16:17], vcc
; %bb.49:
	ds_write_b32 v3, v2
; %bb.50:
	s_or_b64 exec, exec, s[16:17]
	s_movk_i32 s16, 0xff3f
	v_cmp_lt_u32_e64 s[16:17], s16, v4
	s_waitcnt lgkmcnt(0)
	s_barrier
	s_and_saveexec_b64 s[18:19], s[16:17]
	s_cbranch_execz .LBB2_52
; %bb.51:
	v_add_u32_e32 v4, 0xffffff00, v3
	ds_read_b32 v4, v4
	s_waitcnt lgkmcnt(0)
	v_add_u32_e32 v2, v4, v2
.LBB2_52:
	s_or_b64 exec, exec, s[18:19]
	s_barrier
	s_and_saveexec_b64 s[18:19], vcc
; %bb.53:
	ds_write_b32 v3, v2
; %bb.54:
	s_or_b64 exec, exec, s[18:19]
	v_and_b32_e32 v0, 0x380, v0
	s_movk_i32 s18, 0x80
	v_cmp_eq_u32_e64 s[18:19], s18, v0
	s_waitcnt lgkmcnt(0)
	s_barrier
	s_and_saveexec_b64 s[20:21], s[18:19]
	s_cbranch_execz .LBB2_56
; %bb.55:
	v_add_u32_e32 v0, 0xfffffe00, v3
	ds_read_b32 v0, v0
	s_waitcnt lgkmcnt(0)
	v_add_u32_e32 v2, v0, v2
.LBB2_56:
	s_or_b64 exec, exec, s[20:21]
	s_barrier
	s_and_saveexec_b64 s[20:21], vcc
; %bb.57:
	ds_write_b32 v3, v2
; %bb.58:
	s_or_b64 exec, exec, s[20:21]
	s_waitcnt lgkmcnt(0)
	s_barrier
	s_barrier
	s_and_saveexec_b64 s[20:21], vcc
; %bb.59:
	v_sub_u32_e32 v0, v2, v1
	ds_write_b32 v3, v0
; %bb.60:
	s_or_b64 exec, exec, s[20:21]
	v_mov_b32_e32 v0, 0
	s_waitcnt lgkmcnt(0)
	s_barrier
	s_and_saveexec_b64 s[20:21], vcc
; %bb.61:
	ds_read_b32 v0, v3 offset:1024
; %bb.62:
	s_or_b64 exec, exec, s[20:21]
	s_waitcnt lgkmcnt(0)
	v_mov_b32_e32 v1, v0
	s_and_saveexec_b64 s[20:21], s[2:3]
	s_cbranch_execz .LBB2_64
; %bb.63:
	ds_read_b32 v1, v3 offset:1020
	s_waitcnt lgkmcnt(0)
	v_add_u32_e32 v1, v1, v0
.LBB2_64:
	s_or_b64 exec, exec, s[20:21]
	s_barrier
	s_and_saveexec_b64 s[20:21], vcc
; %bb.65:
	ds_write_b32 v3, v1 offset:1024
; %bb.66:
	s_or_b64 exec, exec, s[20:21]
	s_waitcnt lgkmcnt(0)
	s_barrier
	s_and_saveexec_b64 s[20:21], s[6:7]
	s_cbranch_execz .LBB2_68
; %bb.67:
	ds_read_b32 v2, v3 offset:1016
	s_waitcnt lgkmcnt(0)
	v_add_u32_e32 v1, v2, v1
.LBB2_68:
	s_or_b64 exec, exec, s[20:21]
	s_barrier
	s_and_saveexec_b64 s[20:21], vcc
; %bb.69:
	ds_write_b32 v3, v1 offset:1024
; %bb.70:
	s_or_b64 exec, exec, s[20:21]
	s_waitcnt lgkmcnt(0)
	s_barrier
	;; [unrolled: 16-line block ×8, first 2 shown]
	s_barrier
	s_and_saveexec_b64 s[20:21], vcc
; %bb.95:
	v_sub_u32_e32 v0, v1, v0
	ds_write_b32 v3, v0 offset:1024
; %bb.96:
	s_or_b64 exec, exec, s[20:21]
	v_mov_b32_e32 v0, 0
	s_waitcnt lgkmcnt(0)
	s_barrier
	s_and_saveexec_b64 s[20:21], vcc
; %bb.97:
	ds_read_b32 v0, v3 offset:2048
; %bb.98:
	s_or_b64 exec, exec, s[20:21]
	s_waitcnt lgkmcnt(0)
	v_mov_b32_e32 v1, v0
	s_and_saveexec_b64 s[20:21], s[2:3]
	s_cbranch_execz .LBB2_100
; %bb.99:
	ds_read_b32 v1, v3 offset:2044
	s_waitcnt lgkmcnt(0)
	v_add_u32_e32 v1, v1, v0
.LBB2_100:
	s_or_b64 exec, exec, s[20:21]
	s_barrier
	s_and_saveexec_b64 s[20:21], vcc
; %bb.101:
	ds_write_b32 v3, v1 offset:2048
; %bb.102:
	s_or_b64 exec, exec, s[20:21]
	s_waitcnt lgkmcnt(0)
	s_barrier
	s_and_saveexec_b64 s[20:21], s[6:7]
	s_cbranch_execz .LBB2_104
; %bb.103:
	ds_read_b32 v2, v3 offset:2040
	s_waitcnt lgkmcnt(0)
	v_add_u32_e32 v1, v2, v1
.LBB2_104:
	s_or_b64 exec, exec, s[20:21]
	s_barrier
	s_and_saveexec_b64 s[20:21], vcc
; %bb.105:
	ds_write_b32 v3, v1 offset:2048
; %bb.106:
	s_or_b64 exec, exec, s[20:21]
	s_waitcnt lgkmcnt(0)
	s_barrier
	;; [unrolled: 16-line block ×8, first 2 shown]
	s_barrier
	s_and_saveexec_b64 s[20:21], vcc
; %bb.131:
	v_sub_u32_e32 v0, v1, v0
	ds_write_b32 v3, v0 offset:2048
; %bb.132:
	s_or_b64 exec, exec, s[20:21]
	v_mov_b32_e32 v0, 0
	s_waitcnt lgkmcnt(0)
	s_barrier
	s_and_saveexec_b64 s[20:21], vcc
; %bb.133:
	ds_read_b32 v0, v3 offset:3072
; %bb.134:
	s_or_b64 exec, exec, s[20:21]
	s_waitcnt lgkmcnt(0)
	v_mov_b32_e32 v1, v0
	s_and_saveexec_b64 s[20:21], s[2:3]
	s_cbranch_execz .LBB2_136
; %bb.135:
	ds_read_b32 v1, v3 offset:3068
	s_waitcnt lgkmcnt(0)
	v_add_u32_e32 v1, v1, v0
.LBB2_136:
	s_or_b64 exec, exec, s[20:21]
	s_barrier
	s_and_saveexec_b64 s[2:3], vcc
; %bb.137:
	ds_write_b32 v3, v1 offset:3072
; %bb.138:
	s_or_b64 exec, exec, s[2:3]
	s_waitcnt lgkmcnt(0)
	s_barrier
	s_and_saveexec_b64 s[2:3], s[6:7]
	s_cbranch_execz .LBB2_140
; %bb.139:
	ds_read_b32 v2, v3 offset:3064
	s_waitcnt lgkmcnt(0)
	v_add_u32_e32 v1, v2, v1
.LBB2_140:
	s_or_b64 exec, exec, s[2:3]
	s_barrier
	s_and_saveexec_b64 s[2:3], vcc
; %bb.141:
	ds_write_b32 v3, v1 offset:3072
; %bb.142:
	s_or_b64 exec, exec, s[2:3]
	s_waitcnt lgkmcnt(0)
	s_barrier
	;; [unrolled: 16-line block ×8, first 2 shown]
	s_barrier
	s_and_saveexec_b64 s[2:3], vcc
; %bb.167:
	v_sub_u32_e32 v0, v1, v0
	ds_write_b32 v3, v0 offset:3072
; %bb.168:
	s_or_b64 exec, exec, s[2:3]
	s_waitcnt lgkmcnt(0)
	s_barrier
	s_and_saveexec_b64 s[2:3], s[0:1]
	s_cbranch_execz .LBB2_170
; %bb.169:
	s_load_dwordx2 s[0:1], s[4:5], 0x10
	ds_read_b32 v0, v3
	s_waitcnt lgkmcnt(0)
	global_atomic_add v3, v0, s[0:1]
	ds_read_b32 v0, v3 offset:1024
	s_waitcnt lgkmcnt(0)
	global_atomic_add v3, v0, s[0:1] offset:1024
	ds_read_b32 v0, v3 offset:2048
	s_waitcnt lgkmcnt(0)
	global_atomic_add v3, v0, s[0:1] offset:2048
	;; [unrolled: 3-line block ×3, first 2 shown]
.LBB2_170:
	s_endpgm
	.section	.rodata,"a",@progbits
	.p2align	6, 0x0
	.amdhsa_kernel GHistogram
		.amdhsa_group_segment_fixed_size 4100
		.amdhsa_private_segment_fixed_size 0
		.amdhsa_kernarg_size 40
		.amdhsa_user_sgpr_count 6
		.amdhsa_user_sgpr_private_segment_buffer 1
		.amdhsa_user_sgpr_dispatch_ptr 0
		.amdhsa_user_sgpr_queue_ptr 0
		.amdhsa_user_sgpr_kernarg_segment_ptr 1
		.amdhsa_user_sgpr_dispatch_id 0
		.amdhsa_user_sgpr_flat_scratch_init 0
		.amdhsa_user_sgpr_private_segment_size 0
		.amdhsa_uses_dynamic_stack 0
		.amdhsa_system_sgpr_private_segment_wavefront_offset 0
		.amdhsa_system_sgpr_workgroup_id_x 1
		.amdhsa_system_sgpr_workgroup_id_y 0
		.amdhsa_system_sgpr_workgroup_id_z 0
		.amdhsa_system_sgpr_workgroup_info 0
		.amdhsa_system_vgpr_workitem_id 0
		.amdhsa_next_free_vgpr 29
		.amdhsa_next_free_sgpr 61
		.amdhsa_reserve_vcc 1
		.amdhsa_reserve_flat_scratch 0
		.amdhsa_float_round_mode_32 0
		.amdhsa_float_round_mode_16_64 0
		.amdhsa_float_denorm_mode_32 3
		.amdhsa_float_denorm_mode_16_64 3
		.amdhsa_dx10_clamp 1
		.amdhsa_ieee_mode 1
		.amdhsa_fp16_overflow 0
		.amdhsa_exception_fp_ieee_invalid_op 0
		.amdhsa_exception_fp_denorm_src 0
		.amdhsa_exception_fp_ieee_div_zero 0
		.amdhsa_exception_fp_ieee_overflow 0
		.amdhsa_exception_fp_ieee_underflow 0
		.amdhsa_exception_fp_ieee_inexact 0
		.amdhsa_exception_int_div_zero 0
	.end_amdhsa_kernel
	.text
.Lfunc_end2:
	.size	GHistogram, .Lfunc_end2-GHistogram
                                        ; -- End function
	.set GHistogram.num_vgpr, 10
	.set GHistogram.num_agpr, 0
	.set GHistogram.numbered_sgpr, 22
	.set GHistogram.num_named_barrier, 0
	.set GHistogram.private_seg_size, 0
	.set GHistogram.uses_vcc, 1
	.set GHistogram.uses_flat_scratch, 0
	.set GHistogram.has_dyn_sized_stack, 0
	.set GHistogram.has_recursion, 0
	.set GHistogram.has_indirect_call, 0
	.section	.AMDGPU.csdata,"",@progbits
; Kernel info:
; codeLenInByte = 3576
; TotalNumSgprs: 26
; NumVgprs: 10
; ScratchSize: 0
; MemoryBound: 0
; FloatMode: 240
; IeeeMode: 1
; LDSByteSize: 4100 bytes/workgroup (compile time only)
; SGPRBlocks: 8
; VGPRBlocks: 7
; NumSGPRsForWavesPerEU: 65
; NumVGPRsForWavesPerEU: 29
; Occupancy: 8
; WaveLimiterHint : 1
; COMPUTE_PGM_RSRC2:SCRATCH_EN: 0
; COMPUTE_PGM_RSRC2:USER_SGPR: 6
; COMPUTE_PGM_RSRC2:TRAP_HANDLER: 0
; COMPUTE_PGM_RSRC2:TGID_X_EN: 1
; COMPUTE_PGM_RSRC2:TGID_Y_EN: 0
; COMPUTE_PGM_RSRC2:TGID_Z_EN: 0
; COMPUTE_PGM_RSRC2:TIDIG_COMP_CNT: 0
	.text
	.protected	OnesweepReorderKey64    ; -- Begin function OnesweepReorderKey64
	.globl	OnesweepReorderKey64
	.p2align	8
	.type	OnesweepReorderKey64,@function
OnesweepReorderKey64:                   ; @OnesweepReorderKey64
; %bb.0:
	s_load_dwordx4 s[36:39], s[4:5], 0x0
	s_load_dword s7, s[4:5], 0x10
	v_lshrrev_b32_e32 v20, 5, v0
	s_lshl_b32 s33, s6, 12
	v_and_b32_e32 v34, 31, v0
	v_lshl_or_b32 v33, v20, 9, s33
	v_mov_b32_e32 v1, 0
	v_or_b32_e32 v18, v33, v34
	v_lshlrev_b32_e32 v26, 1, v0
	s_waitcnt lgkmcnt(0)
	v_cmp_gt_u32_e64 s[30:31], s7, v18
	v_mov_b32_e32 v2, v1
	v_mov_b32_e32 v3, v1
	;; [unrolled: 1-line block ×15, first 2 shown]
	ds_write_b16 v26, v1 offset:512
	ds_write_b16 v26, v1 offset:1024
	;; [unrolled: 1-line block ×8, first 2 shown]
	s_waitcnt lgkmcnt(0)
	s_barrier
	s_and_saveexec_b64 s[0:1], s[30:31]
	s_cbranch_execz .LBB3_2
; %bb.1:
	v_mov_b32_e32 v19, v1
	v_lshlrev_b64 v[2:3], 2, v[18:19]
	v_mov_b32_e32 v4, s37
	v_add_co_u32_e32 v2, vcc, s36, v2
	v_addc_co_u32_e32 v3, vcc, v4, v3, vcc
	global_load_dword v2, v[2:3], off
	v_mov_b32_e32 v3, v1
	v_mov_b32_e32 v4, v1
	;; [unrolled: 1-line block ×15, first 2 shown]
	s_waitcnt vmcnt(0)
	v_mov_b32_e32 v1, v2
	v_mov_b32_e32 v2, v3
	;; [unrolled: 1-line block ×16, first 2 shown]
.LBB3_2:
	s_or_b64 exec, exec, s[0:1]
	v_or_b32_e32 v17, 32, v18
	v_cmp_gt_u32_e64 s[28:29], s7, v17
	s_and_saveexec_b64 s[0:1], s[28:29]
	s_cbranch_execz .LBB3_4
; %bb.3:
	v_mov_b32_e32 v19, 0
	v_lshlrev_b64 v[21:22], 2, v[18:19]
	v_mov_b32_e32 v2, s37
	v_add_co_u32_e32 v21, vcc, s36, v21
	v_addc_co_u32_e32 v22, vcc, v2, v22, vcc
	global_load_dword v2, v[21:22], off offset:128
.LBB3_4:
	s_or_b64 exec, exec, s[0:1]
	v_or_b32_e32 v17, 64, v18
	v_cmp_gt_u32_e64 s[26:27], s7, v17
	s_and_saveexec_b64 s[0:1], s[26:27]
	s_cbranch_execz .LBB3_6
; %bb.5:
	v_mov_b32_e32 v19, 0
	v_lshlrev_b64 v[21:22], 2, v[18:19]
	v_mov_b32_e32 v3, s37
	v_add_co_u32_e32 v21, vcc, s36, v21
	v_addc_co_u32_e32 v22, vcc, v3, v22, vcc
	global_load_dword v3, v[21:22], off offset:256
.LBB3_6:
	;; [unrolled: 13-line block ×14, first 2 shown]
	s_or_b64 exec, exec, s[40:41]
	v_or_b32_e32 v17, 0x1e0, v18
	v_cmp_gt_u32_e32 vcc, s7, v17
	s_and_saveexec_b64 s[40:41], vcc
	s_cbranch_execz .LBB3_32
; %bb.31:
	v_mov_b32_e32 v19, 0
	v_lshlrev_b64 v[16:17], 2, v[18:19]
	v_mov_b32_e32 v18, s37
	v_add_co_u32_e64 v16, s[36:37], s36, v16
	v_addc_co_u32_e64 v17, s[36:37], v18, v17, s[36:37]
	global_load_dword v16, v[16:17], off offset:1920
.LBB3_32:
	s_or_b64 exec, exec, s[40:41]
	s_load_dwordx2 s[40:41], s[4:5], 0x30
	v_cndmask_b32_e64 v17, 0, 1, s[30:31]
	v_cmp_ne_u32_e64 s[30:31], 0, v17
	v_lshlrev_b32_e32 v27, 1, v20
	s_movk_i32 s42, 0x7f
	s_waitcnt lgkmcnt(0)
	s_lshl_b32 s31, s41, 3
	s_add_i32 s40, s31, s40
	v_bfe_u32 v17, v1, s40, 1
	v_add_co_u32_e64 v17, s[36:37], -1, v17
	v_cndmask_b32_e64 v19, 0, 1, s[36:37]
	v_lshrrev_b32_e32 v28, s40, v1
	v_cmp_ne_u32_e64 s[36:37], 0, v19
	v_xor_b32_e32 v17, s36, v17
	v_bfe_u32 v19, v28, 1, 1
	v_and_b32_e32 v17, s30, v17
	v_add_co_u32_e64 v19, s[30:31], -1, v19
	v_cndmask_b32_e64 v20, 0, 1, s[30:31]
	v_cmp_ne_u32_e64 s[30:31], 0, v20
	v_xor_b32_e32 v19, s30, v19
	v_and_b32_e32 v17, v17, v19
	v_bfe_u32 v19, v28, 2, 1
	v_add_co_u32_e64 v19, s[30:31], -1, v19
	v_cndmask_b32_e64 v20, 0, 1, s[30:31]
	v_cmp_ne_u32_e64 s[30:31], 0, v20
	v_xor_b32_e32 v19, s30, v19
	v_and_b32_e32 v17, v17, v19
	v_bfe_u32 v19, v28, 3, 1
	;; [unrolled: 6-line block ×5, first 2 shown]
	v_add_co_u32_e64 v19, s[30:31], -1, v19
	v_cndmask_b32_e64 v20, 0, 1, s[30:31]
	v_cmp_ne_u32_e64 s[30:31], 0, v20
	v_xor_b32_e32 v19, s30, v19
	v_bfe_u32 v18, v1, s40, 8
	v_and_b32_e32 v17, v17, v19
	v_bfe_u32 v19, v28, 7, 1
	v_cmp_lt_u32_e64 s[30:31], s42, v18
	v_add_u32_e32 v19, -1, v19
	v_xor_b32_e32 v19, s30, v19
	v_lshlrev_b32_e32 v18, 4, v18
	v_and_b32_e32 v17, v17, v19
	v_or_b32_e32 v19, v27, v18
	ds_read_u16 v29, v19 offset:512
	v_ffbl_b32_e32 v19, v17
	v_cmp_ne_u32_e64 s[30:31], 0, v17
	v_cmp_eq_u32_e64 s[36:37], v19, v34
	s_and_b64 s[36:37], s[30:31], s[36:37]
	s_waitcnt vmcnt(0) lgkmcnt(0)
	s_barrier
	s_and_saveexec_b64 s[30:31], s[36:37]
; %bb.33:
	v_bcnt_u32_b32 v19, v17, v29
	v_add_u32_e32 v18, v27, v18
	ds_write_b16 v18, v19 offset:512
; %bb.34:
	s_or_b64 exec, exec, s[30:31]
	v_cndmask_b32_e64 v18, 0, 1, s[28:29]
	v_cmp_ne_u32_e64 s[28:29], 0, v18
	v_bfe_u32 v18, v2, s40, 1
	v_add_co_u32_e64 v18, s[30:31], -1, v18
	v_cndmask_b32_e64 v20, 0, 1, s[30:31]
	v_lshrrev_b32_e32 v30, s40, v2
	v_cmp_ne_u32_e64 s[30:31], 0, v20
	v_xor_b32_e32 v18, s30, v18
	v_bfe_u32 v20, v30, 1, 1
	v_and_b32_e32 v18, s28, v18
	v_add_co_u32_e64 v20, s[28:29], -1, v20
	v_cndmask_b32_e64 v21, 0, 1, s[28:29]
	v_cmp_ne_u32_e64 s[28:29], 0, v21
	v_xor_b32_e32 v20, s28, v20
	v_and_b32_e32 v18, v18, v20
	v_bfe_u32 v20, v30, 2, 1
	v_add_co_u32_e64 v20, s[28:29], -1, v20
	v_cndmask_b32_e64 v21, 0, 1, s[28:29]
	v_cmp_ne_u32_e64 s[28:29], 0, v21
	v_xor_b32_e32 v20, s28, v20
	v_and_b32_e32 v18, v18, v20
	v_bfe_u32 v20, v30, 3, 1
	;; [unrolled: 6-line block ×5, first 2 shown]
	v_add_co_u32_e64 v20, s[28:29], -1, v20
	v_cndmask_b32_e64 v21, 0, 1, s[28:29]
	v_cmp_ne_u32_e64 s[28:29], 0, v21
	v_xor_b32_e32 v20, s28, v20
	v_bfe_u32 v19, v2, s40, 8
	v_and_b32_e32 v18, v18, v20
	v_bfe_u32 v20, v30, 7, 1
	v_cmp_lt_u32_e64 s[28:29], s42, v19
	v_add_u32_e32 v20, -1, v20
	v_xor_b32_e32 v20, s28, v20
	v_lshlrev_b32_e32 v19, 4, v19
	v_and_b32_e32 v18, v18, v20
	v_or_b32_e32 v20, v27, v19
	s_waitcnt lgkmcnt(0)
	s_barrier
	ds_read_u16 v31, v20 offset:512
	v_ffbl_b32_e32 v20, v18
	v_cmp_ne_u32_e64 s[28:29], 0, v18
	v_cmp_eq_u32_e64 s[30:31], v20, v34
	s_and_b64 s[30:31], s[28:29], s[30:31]
	s_waitcnt lgkmcnt(0)
	s_barrier
	s_and_saveexec_b64 s[28:29], s[30:31]
; %bb.35:
	v_bcnt_u32_b32 v20, v18, v31
	v_add_u32_e32 v19, v27, v19
	ds_write_b16 v19, v20 offset:512
; %bb.36:
	s_or_b64 exec, exec, s[28:29]
	v_cndmask_b32_e64 v19, 0, 1, s[26:27]
	v_cmp_ne_u32_e64 s[26:27], 0, v19
	v_bfe_u32 v19, v3, s40, 1
	v_add_co_u32_e64 v19, s[28:29], -1, v19
	v_cndmask_b32_e64 v21, 0, 1, s[28:29]
	v_lshrrev_b32_e32 v32, s40, v3
	v_cmp_ne_u32_e64 s[28:29], 0, v21
	v_xor_b32_e32 v19, s28, v19
	v_bfe_u32 v21, v32, 1, 1
	v_and_b32_e32 v19, s26, v19
	v_add_co_u32_e64 v21, s[26:27], -1, v21
	v_cndmask_b32_e64 v22, 0, 1, s[26:27]
	v_cmp_ne_u32_e64 s[26:27], 0, v22
	v_xor_b32_e32 v21, s26, v21
	v_and_b32_e32 v19, v19, v21
	v_bfe_u32 v21, v32, 2, 1
	v_add_co_u32_e64 v21, s[26:27], -1, v21
	v_cndmask_b32_e64 v22, 0, 1, s[26:27]
	v_cmp_ne_u32_e64 s[26:27], 0, v22
	v_xor_b32_e32 v21, s26, v21
	v_and_b32_e32 v19, v19, v21
	v_bfe_u32 v21, v32, 3, 1
	;; [unrolled: 6-line block ×5, first 2 shown]
	v_add_co_u32_e64 v21, s[26:27], -1, v21
	v_cndmask_b32_e64 v22, 0, 1, s[26:27]
	v_cmp_ne_u32_e64 s[26:27], 0, v22
	v_xor_b32_e32 v21, s26, v21
	v_bfe_u32 v20, v3, s40, 8
	v_and_b32_e32 v19, v19, v21
	v_bfe_u32 v21, v32, 7, 1
	s_movk_i32 s30, 0x7f
	v_cmp_lt_u32_e64 s[26:27], s30, v20
	v_add_u32_e32 v21, -1, v21
	v_xor_b32_e32 v21, s26, v21
	v_lshlrev_b32_e32 v20, 4, v20
	v_and_b32_e32 v19, v19, v21
	v_or_b32_e32 v21, v27, v20
	s_waitcnt lgkmcnt(0)
	s_barrier
	ds_read_u16 v35, v21 offset:512
	v_ffbl_b32_e32 v21, v19
	v_cmp_ne_u32_e64 s[26:27], 0, v19
	v_cmp_eq_u32_e64 s[28:29], v21, v34
	s_and_b64 s[28:29], s[26:27], s[28:29]
	s_waitcnt lgkmcnt(0)
	s_barrier
	s_and_saveexec_b64 s[26:27], s[28:29]
; %bb.37:
	v_bcnt_u32_b32 v21, v19, v35
	v_add_u32_e32 v20, v27, v20
	ds_write_b16 v20, v21 offset:512
; %bb.38:
	s_or_b64 exec, exec, s[26:27]
	v_cndmask_b32_e64 v20, 0, 1, s[24:25]
	v_cmp_ne_u32_e64 s[24:25], 0, v20
	v_bfe_u32 v20, v4, s40, 1
	v_add_co_u32_e64 v20, s[26:27], -1, v20
	v_cndmask_b32_e64 v22, 0, 1, s[26:27]
	v_lshrrev_b32_e32 v36, s40, v4
	v_cmp_ne_u32_e64 s[26:27], 0, v22
	v_xor_b32_e32 v20, s26, v20
	v_bfe_u32 v22, v36, 1, 1
	v_and_b32_e32 v20, s24, v20
	v_add_co_u32_e64 v22, s[24:25], -1, v22
	v_cndmask_b32_e64 v23, 0, 1, s[24:25]
	v_cmp_ne_u32_e64 s[24:25], 0, v23
	v_xor_b32_e32 v22, s24, v22
	v_and_b32_e32 v20, v20, v22
	v_bfe_u32 v22, v36, 2, 1
	v_add_co_u32_e64 v22, s[24:25], -1, v22
	v_cndmask_b32_e64 v23, 0, 1, s[24:25]
	v_cmp_ne_u32_e64 s[24:25], 0, v23
	v_xor_b32_e32 v22, s24, v22
	v_and_b32_e32 v20, v20, v22
	v_bfe_u32 v22, v36, 3, 1
	;; [unrolled: 6-line block ×5, first 2 shown]
	v_add_co_u32_e64 v22, s[24:25], -1, v22
	v_cndmask_b32_e64 v23, 0, 1, s[24:25]
	v_cmp_ne_u32_e64 s[24:25], 0, v23
	v_xor_b32_e32 v22, s24, v22
	v_bfe_u32 v21, v4, s40, 8
	v_and_b32_e32 v20, v20, v22
	v_bfe_u32 v22, v36, 7, 1
	v_cmp_lt_u32_e64 s[24:25], s30, v21
	v_add_u32_e32 v22, -1, v22
	v_xor_b32_e32 v22, s24, v22
	v_lshlrev_b32_e32 v21, 4, v21
	v_and_b32_e32 v20, v20, v22
	v_or_b32_e32 v22, v27, v21
	s_waitcnt lgkmcnt(0)
	s_barrier
	ds_read_u16 v38, v22 offset:512
	v_ffbl_b32_e32 v22, v20
	v_cmp_ne_u32_e64 s[24:25], 0, v20
	v_cmp_eq_u32_e64 s[26:27], v22, v34
	s_and_b64 s[26:27], s[24:25], s[26:27]
	s_waitcnt lgkmcnt(0)
	s_barrier
	s_and_saveexec_b64 s[24:25], s[26:27]
; %bb.39:
	v_bcnt_u32_b32 v22, v20, v38
	v_add_u32_e32 v21, v27, v21
	ds_write_b16 v21, v22 offset:512
; %bb.40:
	s_or_b64 exec, exec, s[24:25]
	v_cndmask_b32_e64 v21, 0, 1, s[22:23]
	v_cmp_ne_u32_e64 s[22:23], 0, v21
	v_bfe_u32 v21, v5, s40, 1
	v_add_co_u32_e64 v21, s[24:25], -1, v21
	v_cndmask_b32_e64 v23, 0, 1, s[24:25]
	v_lshrrev_b32_e32 v37, s40, v5
	v_cmp_ne_u32_e64 s[24:25], 0, v23
	v_xor_b32_e32 v21, s24, v21
	v_bfe_u32 v23, v37, 1, 1
	v_and_b32_e32 v21, s22, v21
	v_add_co_u32_e64 v23, s[22:23], -1, v23
	v_cndmask_b32_e64 v24, 0, 1, s[22:23]
	v_cmp_ne_u32_e64 s[22:23], 0, v24
	v_xor_b32_e32 v23, s22, v23
	v_and_b32_e32 v21, v21, v23
	v_bfe_u32 v23, v37, 2, 1
	v_add_co_u32_e64 v23, s[22:23], -1, v23
	v_cndmask_b32_e64 v24, 0, 1, s[22:23]
	v_cmp_ne_u32_e64 s[22:23], 0, v24
	v_xor_b32_e32 v23, s22, v23
	v_and_b32_e32 v21, v21, v23
	v_bfe_u32 v23, v37, 3, 1
	v_add_co_u32_e64 v23, s[22:23], -1, v23
	v_cndmask_b32_e64 v24, 0, 1, s[22:23]
	v_cmp_ne_u32_e64 s[22:23], 0, v24
	v_xor_b32_e32 v23, s22, v23
	v_and_b32_e32 v21, v21, v23
	v_bfe_u32 v23, v37, 4, 1
	v_add_co_u32_e64 v23, s[22:23], -1, v23
	v_cndmask_b32_e64 v24, 0, 1, s[22:23]
	v_cmp_ne_u32_e64 s[22:23], 0, v24
	v_xor_b32_e32 v23, s22, v23
	v_and_b32_e32 v21, v21, v23
	v_bfe_u32 v23, v37, 5, 1
	v_add_co_u32_e64 v23, s[22:23], -1, v23
	v_cndmask_b32_e64 v24, 0, 1, s[22:23]
	v_cmp_ne_u32_e64 s[22:23], 0, v24
	v_xor_b32_e32 v23, s22, v23
	v_and_b32_e32 v21, v21, v23
	v_bfe_u32 v23, v37, 6, 1
	v_add_co_u32_e64 v23, s[22:23], -1, v23
	v_cndmask_b32_e64 v24, 0, 1, s[22:23]
	v_cmp_ne_u32_e64 s[22:23], 0, v24
	v_xor_b32_e32 v23, s22, v23
	v_bfe_u32 v22, v5, s40, 8
	v_and_b32_e32 v21, v21, v23
	v_bfe_u32 v23, v37, 7, 1
	s_movk_i32 s26, 0x7f
	v_cmp_lt_u32_e64 s[22:23], s26, v22
	v_add_u32_e32 v23, -1, v23
	v_xor_b32_e32 v23, s22, v23
	v_lshlrev_b32_e32 v22, 4, v22
	v_and_b32_e32 v21, v21, v23
	v_or_b32_e32 v23, v27, v22
	s_waitcnt lgkmcnt(0)
	s_barrier
	ds_read_u16 v40, v23 offset:512
	v_ffbl_b32_e32 v23, v21
	v_cmp_ne_u32_e64 s[22:23], 0, v21
	v_cmp_eq_u32_e64 s[24:25], v23, v34
	s_and_b64 s[24:25], s[22:23], s[24:25]
	s_waitcnt lgkmcnt(0)
	s_barrier
	s_and_saveexec_b64 s[22:23], s[24:25]
; %bb.41:
	v_bcnt_u32_b32 v23, v21, v40
	v_add_u32_e32 v22, v27, v22
	ds_write_b16 v22, v23 offset:512
; %bb.42:
	s_or_b64 exec, exec, s[22:23]
	v_cndmask_b32_e64 v22, 0, 1, s[20:21]
	v_cmp_ne_u32_e64 s[20:21], 0, v22
	v_bfe_u32 v22, v6, s40, 1
	v_add_co_u32_e64 v22, s[22:23], -1, v22
	v_cndmask_b32_e64 v24, 0, 1, s[22:23]
	v_lshrrev_b32_e32 v39, s40, v6
	v_cmp_ne_u32_e64 s[22:23], 0, v24
	v_xor_b32_e32 v22, s22, v22
	v_bfe_u32 v24, v39, 1, 1
	v_and_b32_e32 v22, s20, v22
	v_add_co_u32_e64 v24, s[20:21], -1, v24
	v_cndmask_b32_e64 v25, 0, 1, s[20:21]
	v_cmp_ne_u32_e64 s[20:21], 0, v25
	v_xor_b32_e32 v24, s20, v24
	v_and_b32_e32 v22, v22, v24
	v_bfe_u32 v24, v39, 2, 1
	v_add_co_u32_e64 v24, s[20:21], -1, v24
	v_cndmask_b32_e64 v25, 0, 1, s[20:21]
	v_cmp_ne_u32_e64 s[20:21], 0, v25
	v_xor_b32_e32 v24, s20, v24
	v_and_b32_e32 v22, v22, v24
	v_bfe_u32 v24, v39, 3, 1
	;; [unrolled: 6-line block ×5, first 2 shown]
	v_add_co_u32_e64 v24, s[20:21], -1, v24
	v_cndmask_b32_e64 v25, 0, 1, s[20:21]
	v_cmp_ne_u32_e64 s[20:21], 0, v25
	v_xor_b32_e32 v24, s20, v24
	v_bfe_u32 v23, v6, s40, 8
	v_and_b32_e32 v22, v22, v24
	v_bfe_u32 v24, v39, 7, 1
	v_cmp_lt_u32_e64 s[20:21], s26, v23
	v_add_u32_e32 v24, -1, v24
	v_xor_b32_e32 v24, s20, v24
	v_lshlrev_b32_e32 v23, 4, v23
	v_and_b32_e32 v22, v22, v24
	v_or_b32_e32 v24, v27, v23
	s_waitcnt lgkmcnt(0)
	s_barrier
	ds_read_u16 v42, v24 offset:512
	v_ffbl_b32_e32 v24, v22
	v_cmp_ne_u32_e64 s[20:21], 0, v22
	v_cmp_eq_u32_e64 s[22:23], v24, v34
	s_and_b64 s[22:23], s[20:21], s[22:23]
	s_waitcnt lgkmcnt(0)
	s_barrier
	s_and_saveexec_b64 s[20:21], s[22:23]
; %bb.43:
	v_bcnt_u32_b32 v24, v22, v42
	v_add_u32_e32 v23, v27, v23
	ds_write_b16 v23, v24 offset:512
; %bb.44:
	s_or_b64 exec, exec, s[20:21]
	v_cndmask_b32_e64 v23, 0, 1, s[18:19]
	v_cmp_ne_u32_e64 s[18:19], 0, v23
	v_bfe_u32 v23, v7, s40, 1
	v_add_co_u32_e64 v23, s[20:21], -1, v23
	v_cndmask_b32_e64 v25, 0, 1, s[20:21]
	v_lshrrev_b32_e32 v41, s40, v7
	v_cmp_ne_u32_e64 s[20:21], 0, v25
	v_xor_b32_e32 v23, s20, v23
	v_bfe_u32 v25, v41, 1, 1
	v_and_b32_e32 v23, s18, v23
	v_add_co_u32_e64 v25, s[18:19], -1, v25
	v_cndmask_b32_e64 v43, 0, 1, s[18:19]
	v_cmp_ne_u32_e64 s[18:19], 0, v43
	v_xor_b32_e32 v25, s18, v25
	v_and_b32_e32 v23, v23, v25
	v_bfe_u32 v25, v41, 2, 1
	v_add_co_u32_e64 v25, s[18:19], -1, v25
	v_cndmask_b32_e64 v43, 0, 1, s[18:19]
	v_cmp_ne_u32_e64 s[18:19], 0, v43
	v_xor_b32_e32 v25, s18, v25
	v_and_b32_e32 v23, v23, v25
	v_bfe_u32 v25, v41, 3, 1
	;; [unrolled: 6-line block ×5, first 2 shown]
	v_add_co_u32_e64 v25, s[18:19], -1, v25
	v_cndmask_b32_e64 v43, 0, 1, s[18:19]
	v_cmp_ne_u32_e64 s[18:19], 0, v43
	v_xor_b32_e32 v25, s18, v25
	v_bfe_u32 v24, v7, s40, 8
	v_and_b32_e32 v23, v23, v25
	v_bfe_u32 v25, v41, 7, 1
	s_movk_i32 s22, 0x7f
	v_cmp_lt_u32_e64 s[18:19], s22, v24
	v_add_u32_e32 v25, -1, v25
	v_xor_b32_e32 v25, s18, v25
	v_lshlrev_b32_e32 v24, 4, v24
	v_and_b32_e32 v23, v23, v25
	v_or_b32_e32 v25, v27, v24
	s_waitcnt lgkmcnt(0)
	s_barrier
	ds_read_u16 v44, v25 offset:512
	v_ffbl_b32_e32 v25, v23
	v_cmp_ne_u32_e64 s[18:19], 0, v23
	v_cmp_eq_u32_e64 s[20:21], v25, v34
	s_and_b64 s[20:21], s[18:19], s[20:21]
	s_waitcnt lgkmcnt(0)
	s_barrier
	s_and_saveexec_b64 s[18:19], s[20:21]
; %bb.45:
	v_bcnt_u32_b32 v25, v23, v44
	v_add_u32_e32 v24, v27, v24
	ds_write_b16 v24, v25 offset:512
; %bb.46:
	s_or_b64 exec, exec, s[18:19]
	v_cndmask_b32_e64 v24, 0, 1, s[16:17]
	v_cmp_ne_u32_e64 s[16:17], 0, v24
	v_bfe_u32 v24, v8, s40, 1
	v_add_co_u32_e64 v24, s[18:19], -1, v24
	v_cndmask_b32_e64 v45, 0, 1, s[18:19]
	v_lshrrev_b32_e32 v43, s40, v8
	v_cmp_ne_u32_e64 s[18:19], 0, v45
	v_xor_b32_e32 v24, s18, v24
	v_bfe_u32 v45, v43, 1, 1
	v_and_b32_e32 v24, s16, v24
	v_add_co_u32_e64 v45, s[16:17], -1, v45
	v_cndmask_b32_e64 v46, 0, 1, s[16:17]
	v_cmp_ne_u32_e64 s[16:17], 0, v46
	v_xor_b32_e32 v45, s16, v45
	v_and_b32_e32 v24, v24, v45
	v_bfe_u32 v45, v43, 2, 1
	v_add_co_u32_e64 v45, s[16:17], -1, v45
	v_cndmask_b32_e64 v46, 0, 1, s[16:17]
	v_cmp_ne_u32_e64 s[16:17], 0, v46
	v_xor_b32_e32 v45, s16, v45
	v_and_b32_e32 v24, v24, v45
	v_bfe_u32 v45, v43, 3, 1
	;; [unrolled: 6-line block ×5, first 2 shown]
	v_add_co_u32_e64 v45, s[16:17], -1, v45
	v_cndmask_b32_e64 v46, 0, 1, s[16:17]
	v_cmp_ne_u32_e64 s[16:17], 0, v46
	v_xor_b32_e32 v45, s16, v45
	v_bfe_u32 v25, v8, s40, 8
	v_and_b32_e32 v24, v24, v45
	v_bfe_u32 v45, v43, 7, 1
	v_cmp_lt_u32_e64 s[16:17], s22, v25
	v_add_u32_e32 v45, -1, v45
	v_xor_b32_e32 v45, s16, v45
	v_lshlrev_b32_e32 v25, 4, v25
	v_and_b32_e32 v24, v24, v45
	v_or_b32_e32 v45, v27, v25
	s_waitcnt lgkmcnt(0)
	s_barrier
	ds_read_u16 v46, v45 offset:512
	v_ffbl_b32_e32 v45, v24
	v_cmp_ne_u32_e64 s[16:17], 0, v24
	v_cmp_eq_u32_e64 s[18:19], v45, v34
	s_and_b64 s[18:19], s[16:17], s[18:19]
	s_waitcnt lgkmcnt(0)
	s_barrier
	s_and_saveexec_b64 s[16:17], s[18:19]
; %bb.47:
	v_bcnt_u32_b32 v45, v24, v46
	v_add_u32_e32 v25, v27, v25
	ds_write_b16 v25, v45 offset:512
; %bb.48:
	s_or_b64 exec, exec, s[16:17]
	v_cndmask_b32_e64 v25, 0, 1, s[14:15]
	v_cmp_ne_u32_e64 s[14:15], 0, v25
	v_bfe_u32 v25, v9, s40, 1
	v_add_co_u32_e64 v25, s[16:17], -1, v25
	v_cndmask_b32_e64 v48, 0, 1, s[16:17]
	v_lshrrev_b32_e32 v45, s40, v9
	v_cmp_ne_u32_e64 s[16:17], 0, v48
	v_xor_b32_e32 v25, s16, v25
	v_bfe_u32 v48, v45, 1, 1
	v_and_b32_e32 v25, s14, v25
	v_add_co_u32_e64 v48, s[14:15], -1, v48
	v_cndmask_b32_e64 v49, 0, 1, s[14:15]
	v_cmp_ne_u32_e64 s[14:15], 0, v49
	v_xor_b32_e32 v48, s14, v48
	v_and_b32_e32 v25, v25, v48
	v_bfe_u32 v48, v45, 2, 1
	v_add_co_u32_e64 v48, s[14:15], -1, v48
	v_cndmask_b32_e64 v49, 0, 1, s[14:15]
	v_cmp_ne_u32_e64 s[14:15], 0, v49
	v_xor_b32_e32 v48, s14, v48
	v_and_b32_e32 v25, v25, v48
	v_bfe_u32 v48, v45, 3, 1
	;; [unrolled: 6-line block ×5, first 2 shown]
	v_add_co_u32_e64 v48, s[14:15], -1, v48
	v_cndmask_b32_e64 v49, 0, 1, s[14:15]
	v_cmp_ne_u32_e64 s[14:15], 0, v49
	v_xor_b32_e32 v48, s14, v48
	v_bfe_u32 v47, v9, s40, 8
	v_and_b32_e32 v25, v25, v48
	v_bfe_u32 v48, v45, 7, 1
	s_movk_i32 s18, 0x7f
	v_cmp_lt_u32_e64 s[14:15], s18, v47
	v_add_u32_e32 v48, -1, v48
	v_xor_b32_e32 v48, s14, v48
	v_lshlrev_b32_e32 v47, 4, v47
	v_and_b32_e32 v25, v25, v48
	v_or_b32_e32 v48, v27, v47
	s_waitcnt lgkmcnt(0)
	s_barrier
	ds_read_u16 v48, v48 offset:512
	v_ffbl_b32_e32 v49, v25
	v_cmp_ne_u32_e64 s[14:15], 0, v25
	v_cmp_eq_u32_e64 s[16:17], v49, v34
	s_and_b64 s[16:17], s[14:15], s[16:17]
	s_waitcnt lgkmcnt(0)
	s_barrier
	s_and_saveexec_b64 s[14:15], s[16:17]
; %bb.49:
	v_bcnt_u32_b32 v49, v25, v48
	v_add_u32_e32 v47, v27, v47
	ds_write_b16 v47, v49 offset:512
; %bb.50:
	s_or_b64 exec, exec, s[14:15]
	v_cndmask_b32_e64 v50, 0, 1, s[12:13]
	v_cmp_ne_u32_e64 s[12:13], 0, v50
	v_bfe_u32 v50, v10, s40, 1
	v_add_co_u32_e64 v50, s[14:15], -1, v50
	v_cndmask_b32_e64 v51, 0, 1, s[14:15]
	v_lshrrev_b32_e32 v47, s40, v10
	v_cmp_ne_u32_e64 s[14:15], 0, v51
	v_xor_b32_e32 v50, s14, v50
	v_bfe_u32 v51, v47, 1, 1
	v_and_b32_e32 v50, s12, v50
	v_add_co_u32_e64 v51, s[12:13], -1, v51
	v_cndmask_b32_e64 v52, 0, 1, s[12:13]
	v_cmp_ne_u32_e64 s[12:13], 0, v52
	v_xor_b32_e32 v51, s12, v51
	v_and_b32_e32 v50, v50, v51
	v_bfe_u32 v51, v47, 2, 1
	v_add_co_u32_e64 v51, s[12:13], -1, v51
	v_cndmask_b32_e64 v52, 0, 1, s[12:13]
	v_cmp_ne_u32_e64 s[12:13], 0, v52
	v_xor_b32_e32 v51, s12, v51
	v_and_b32_e32 v50, v50, v51
	v_bfe_u32 v51, v47, 3, 1
	v_add_co_u32_e64 v51, s[12:13], -1, v51
	v_cndmask_b32_e64 v52, 0, 1, s[12:13]
	v_cmp_ne_u32_e64 s[12:13], 0, v52
	v_xor_b32_e32 v51, s12, v51
	v_and_b32_e32 v50, v50, v51
	v_bfe_u32 v51, v47, 4, 1
	v_add_co_u32_e64 v51, s[12:13], -1, v51
	v_cndmask_b32_e64 v52, 0, 1, s[12:13]
	v_cmp_ne_u32_e64 s[12:13], 0, v52
	v_xor_b32_e32 v51, s12, v51
	v_and_b32_e32 v50, v50, v51
	v_bfe_u32 v51, v47, 5, 1
	v_add_co_u32_e64 v51, s[12:13], -1, v51
	v_cndmask_b32_e64 v52, 0, 1, s[12:13]
	v_cmp_ne_u32_e64 s[12:13], 0, v52
	v_xor_b32_e32 v51, s12, v51
	v_and_b32_e32 v50, v50, v51
	v_bfe_u32 v51, v47, 6, 1
	v_add_co_u32_e64 v51, s[12:13], -1, v51
	v_cndmask_b32_e64 v52, 0, 1, s[12:13]
	v_cmp_ne_u32_e64 s[12:13], 0, v52
	v_xor_b32_e32 v51, s12, v51
	v_bfe_u32 v49, v10, s40, 8
	v_and_b32_e32 v50, v50, v51
	v_bfe_u32 v51, v47, 7, 1
	v_cmp_lt_u32_e64 s[12:13], s18, v49
	v_add_u32_e32 v51, -1, v51
	v_xor_b32_e32 v51, s12, v51
	v_lshlrev_b32_e32 v49, 4, v49
	v_and_b32_e32 v62, v50, v51
	v_or_b32_e32 v50, v27, v49
	s_waitcnt lgkmcnt(0)
	s_barrier
	ds_read_u16 v50, v50 offset:512
	v_ffbl_b32_e32 v51, v62
	v_cmp_ne_u32_e64 s[12:13], 0, v62
	v_cmp_eq_u32_e64 s[14:15], v51, v34
	s_and_b64 s[14:15], s[12:13], s[14:15]
	s_waitcnt lgkmcnt(0)
	s_barrier
	s_and_saveexec_b64 s[12:13], s[14:15]
; %bb.51:
	v_bcnt_u32_b32 v51, v62, v50
	v_add_u32_e32 v49, v27, v49
	ds_write_b16 v49, v51 offset:512
; %bb.52:
	s_or_b64 exec, exec, s[12:13]
	v_cndmask_b32_e64 v52, 0, 1, s[10:11]
	v_cmp_ne_u32_e64 s[10:11], 0, v52
	v_bfe_u32 v52, v11, s40, 1
	v_add_co_u32_e64 v52, s[12:13], -1, v52
	v_cndmask_b32_e64 v53, 0, 1, s[12:13]
	v_lshrrev_b32_e32 v49, s40, v11
	v_cmp_ne_u32_e64 s[12:13], 0, v53
	v_xor_b32_e32 v52, s12, v52
	v_bfe_u32 v53, v49, 1, 1
	v_and_b32_e32 v52, s10, v52
	v_add_co_u32_e64 v53, s[10:11], -1, v53
	v_cndmask_b32_e64 v54, 0, 1, s[10:11]
	v_cmp_ne_u32_e64 s[10:11], 0, v54
	v_xor_b32_e32 v53, s10, v53
	v_and_b32_e32 v52, v52, v53
	v_bfe_u32 v53, v49, 2, 1
	v_add_co_u32_e64 v53, s[10:11], -1, v53
	v_cndmask_b32_e64 v54, 0, 1, s[10:11]
	v_cmp_ne_u32_e64 s[10:11], 0, v54
	v_xor_b32_e32 v53, s10, v53
	v_and_b32_e32 v52, v52, v53
	v_bfe_u32 v53, v49, 3, 1
	;; [unrolled: 6-line block ×5, first 2 shown]
	v_add_co_u32_e64 v53, s[10:11], -1, v53
	v_cndmask_b32_e64 v54, 0, 1, s[10:11]
	v_cmp_ne_u32_e64 s[10:11], 0, v54
	v_xor_b32_e32 v53, s10, v53
	v_bfe_u32 v51, v11, s40, 8
	v_and_b32_e32 v52, v52, v53
	v_bfe_u32 v53, v49, 7, 1
	s_movk_i32 s14, 0x7f
	v_cmp_lt_u32_e64 s[10:11], s14, v51
	v_add_u32_e32 v53, -1, v53
	v_xor_b32_e32 v53, s10, v53
	v_lshlrev_b32_e32 v51, 4, v51
	v_and_b32_e32 v63, v52, v53
	v_or_b32_e32 v52, v27, v51
	s_waitcnt lgkmcnt(0)
	s_barrier
	ds_read_u16 v52, v52 offset:512
	v_ffbl_b32_e32 v53, v63
	v_cmp_ne_u32_e64 s[10:11], 0, v63
	v_cmp_eq_u32_e64 s[12:13], v53, v34
	s_and_b64 s[12:13], s[10:11], s[12:13]
	s_waitcnt lgkmcnt(0)
	s_barrier
	s_and_saveexec_b64 s[10:11], s[12:13]
; %bb.53:
	v_bcnt_u32_b32 v53, v63, v52
	v_add_u32_e32 v51, v27, v51
	ds_write_b16 v51, v53 offset:512
; %bb.54:
	s_or_b64 exec, exec, s[10:11]
	v_cndmask_b32_e64 v54, 0, 1, s[8:9]
	v_cmp_ne_u32_e64 s[8:9], 0, v54
	v_bfe_u32 v54, v12, s40, 1
	v_add_co_u32_e64 v54, s[10:11], -1, v54
	v_cndmask_b32_e64 v55, 0, 1, s[10:11]
	v_lshrrev_b32_e32 v51, s40, v12
	v_cmp_ne_u32_e64 s[10:11], 0, v55
	v_xor_b32_e32 v54, s10, v54
	v_bfe_u32 v55, v51, 1, 1
	v_and_b32_e32 v54, s8, v54
	v_add_co_u32_e64 v55, s[8:9], -1, v55
	v_cndmask_b32_e64 v56, 0, 1, s[8:9]
	v_cmp_ne_u32_e64 s[8:9], 0, v56
	v_xor_b32_e32 v55, s8, v55
	v_and_b32_e32 v54, v54, v55
	v_bfe_u32 v55, v51, 2, 1
	v_add_co_u32_e64 v55, s[8:9], -1, v55
	v_cndmask_b32_e64 v56, 0, 1, s[8:9]
	v_cmp_ne_u32_e64 s[8:9], 0, v56
	v_xor_b32_e32 v55, s8, v55
	v_and_b32_e32 v54, v54, v55
	v_bfe_u32 v55, v51, 3, 1
	;; [unrolled: 6-line block ×5, first 2 shown]
	v_add_co_u32_e64 v55, s[8:9], -1, v55
	v_cndmask_b32_e64 v56, 0, 1, s[8:9]
	v_cmp_ne_u32_e64 s[8:9], 0, v56
	v_xor_b32_e32 v55, s8, v55
	v_bfe_u32 v53, v12, s40, 8
	v_and_b32_e32 v54, v54, v55
	v_bfe_u32 v55, v51, 7, 1
	v_cmp_lt_u32_e64 s[8:9], s14, v53
	v_add_u32_e32 v55, -1, v55
	v_xor_b32_e32 v55, s8, v55
	v_lshlrev_b32_e32 v53, 4, v53
	v_and_b32_e32 v64, v54, v55
	v_or_b32_e32 v54, v27, v53
	s_waitcnt lgkmcnt(0)
	s_barrier
	ds_read_u16 v54, v54 offset:512
	v_ffbl_b32_e32 v55, v64
	v_cmp_ne_u32_e64 s[8:9], 0, v64
	v_cmp_eq_u32_e64 s[10:11], v55, v34
	s_and_b64 s[10:11], s[8:9], s[10:11]
	s_waitcnt lgkmcnt(0)
	s_barrier
	s_and_saveexec_b64 s[8:9], s[10:11]
; %bb.55:
	v_bcnt_u32_b32 v55, v64, v54
	v_add_u32_e32 v53, v27, v53
	ds_write_b16 v53, v55 offset:512
; %bb.56:
	s_or_b64 exec, exec, s[8:9]
	v_cndmask_b32_e64 v56, 0, 1, s[34:35]
	v_cmp_ne_u32_e64 s[8:9], 0, v56
	v_bfe_u32 v56, v13, s40, 1
	v_add_co_u32_e64 v56, s[10:11], -1, v56
	v_cndmask_b32_e64 v57, 0, 1, s[10:11]
	v_lshrrev_b32_e32 v53, s40, v13
	v_cmp_ne_u32_e64 s[10:11], 0, v57
	v_xor_b32_e32 v56, s10, v56
	v_bfe_u32 v57, v53, 1, 1
	v_and_b32_e32 v56, s8, v56
	v_add_co_u32_e64 v57, s[8:9], -1, v57
	v_cndmask_b32_e64 v58, 0, 1, s[8:9]
	v_cmp_ne_u32_e64 s[8:9], 0, v58
	v_xor_b32_e32 v57, s8, v57
	v_and_b32_e32 v56, v56, v57
	v_bfe_u32 v57, v53, 2, 1
	v_add_co_u32_e64 v57, s[8:9], -1, v57
	v_cndmask_b32_e64 v58, 0, 1, s[8:9]
	v_cmp_ne_u32_e64 s[8:9], 0, v58
	v_xor_b32_e32 v57, s8, v57
	v_and_b32_e32 v56, v56, v57
	v_bfe_u32 v57, v53, 3, 1
	;; [unrolled: 6-line block ×5, first 2 shown]
	v_add_co_u32_e64 v57, s[8:9], -1, v57
	v_cndmask_b32_e64 v58, 0, 1, s[8:9]
	v_cmp_ne_u32_e64 s[8:9], 0, v58
	v_xor_b32_e32 v57, s8, v57
	v_bfe_u32 v55, v13, s40, 8
	v_and_b32_e32 v56, v56, v57
	v_bfe_u32 v57, v53, 7, 1
	s_movk_i32 s12, 0x7f
	v_cmp_lt_u32_e64 s[8:9], s12, v55
	v_add_u32_e32 v57, -1, v57
	v_xor_b32_e32 v57, s8, v57
	v_lshlrev_b32_e32 v55, 4, v55
	v_and_b32_e32 v65, v56, v57
	v_or_b32_e32 v56, v27, v55
	s_waitcnt lgkmcnt(0)
	s_barrier
	ds_read_u16 v56, v56 offset:512
	v_ffbl_b32_e32 v57, v65
	v_cmp_ne_u32_e64 s[8:9], 0, v65
	v_cmp_eq_u32_e64 s[10:11], v57, v34
	s_and_b64 s[10:11], s[8:9], s[10:11]
	s_waitcnt lgkmcnt(0)
	s_barrier
	s_and_saveexec_b64 s[8:9], s[10:11]
; %bb.57:
	v_bcnt_u32_b32 v57, v65, v56
	v_add_u32_e32 v55, v27, v55
	ds_write_b16 v55, v57 offset:512
; %bb.58:
	s_or_b64 exec, exec, s[8:9]
	v_cndmask_b32_e64 v58, 0, 1, s[2:3]
	v_cmp_ne_u32_e64 s[2:3], 0, v58
	v_bfe_u32 v58, v14, s40, 1
	v_add_co_u32_e64 v58, s[8:9], -1, v58
	v_cndmask_b32_e64 v59, 0, 1, s[8:9]
	v_lshrrev_b32_e32 v55, s40, v14
	v_cmp_ne_u32_e64 s[8:9], 0, v59
	v_xor_b32_e32 v58, s8, v58
	v_bfe_u32 v59, v55, 1, 1
	v_and_b32_e32 v58, s2, v58
	v_add_co_u32_e64 v59, s[2:3], -1, v59
	v_cndmask_b32_e64 v60, 0, 1, s[2:3]
	v_cmp_ne_u32_e64 s[2:3], 0, v60
	v_xor_b32_e32 v59, s2, v59
	v_and_b32_e32 v58, v58, v59
	v_bfe_u32 v59, v55, 2, 1
	v_add_co_u32_e64 v59, s[2:3], -1, v59
	v_cndmask_b32_e64 v60, 0, 1, s[2:3]
	v_cmp_ne_u32_e64 s[2:3], 0, v60
	v_xor_b32_e32 v59, s2, v59
	v_and_b32_e32 v58, v58, v59
	v_bfe_u32 v59, v55, 3, 1
	v_add_co_u32_e64 v59, s[2:3], -1, v59
	v_cndmask_b32_e64 v60, 0, 1, s[2:3]
	v_cmp_ne_u32_e64 s[2:3], 0, v60
	v_xor_b32_e32 v59, s2, v59
	v_and_b32_e32 v58, v58, v59
	v_bfe_u32 v59, v55, 4, 1
	v_add_co_u32_e64 v59, s[2:3], -1, v59
	v_cndmask_b32_e64 v60, 0, 1, s[2:3]
	v_cmp_ne_u32_e64 s[2:3], 0, v60
	v_xor_b32_e32 v59, s2, v59
	v_and_b32_e32 v58, v58, v59
	v_bfe_u32 v59, v55, 5, 1
	v_add_co_u32_e64 v59, s[2:3], -1, v59
	v_cndmask_b32_e64 v60, 0, 1, s[2:3]
	v_cmp_ne_u32_e64 s[2:3], 0, v60
	v_xor_b32_e32 v59, s2, v59
	v_and_b32_e32 v58, v58, v59
	v_bfe_u32 v59, v55, 6, 1
	v_add_co_u32_e64 v59, s[2:3], -1, v59
	v_cndmask_b32_e64 v60, 0, 1, s[2:3]
	v_cmp_ne_u32_e64 s[2:3], 0, v60
	v_xor_b32_e32 v59, s2, v59
	v_bfe_u32 v57, v14, s40, 8
	v_and_b32_e32 v58, v58, v59
	v_bfe_u32 v59, v55, 7, 1
	v_cmp_lt_u32_e64 s[2:3], s12, v57
	v_add_u32_e32 v59, -1, v59
	v_xor_b32_e32 v59, s2, v59
	v_lshlrev_b32_e32 v57, 4, v57
	v_and_b32_e32 v66, v58, v59
	v_or_b32_e32 v58, v27, v57
	s_waitcnt lgkmcnt(0)
	s_barrier
	ds_read_u16 v58, v58 offset:512
	v_ffbl_b32_e32 v59, v66
	v_cmp_ne_u32_e64 s[2:3], 0, v66
	v_cmp_eq_u32_e64 s[8:9], v59, v34
	s_and_b64 s[8:9], s[2:3], s[8:9]
	s_waitcnt lgkmcnt(0)
	s_barrier
	s_and_saveexec_b64 s[2:3], s[8:9]
; %bb.59:
	v_bcnt_u32_b32 v59, v66, v58
	v_add_u32_e32 v57, v27, v57
	ds_write_b16 v57, v59 offset:512
; %bb.60:
	s_or_b64 exec, exec, s[2:3]
	v_cndmask_b32_e64 v60, 0, 1, s[0:1]
	v_cmp_ne_u32_e64 s[0:1], 0, v60
	v_bfe_u32 v60, v15, s40, 1
	v_add_co_u32_e64 v60, s[2:3], -1, v60
	v_cndmask_b32_e64 v61, 0, 1, s[2:3]
	v_lshrrev_b32_e32 v57, s40, v15
	v_cmp_ne_u32_e64 s[2:3], 0, v61
	v_xor_b32_e32 v60, s2, v60
	v_bfe_u32 v61, v57, 1, 1
	v_and_b32_e32 v60, s0, v60
	v_add_co_u32_e64 v61, s[0:1], -1, v61
	v_cndmask_b32_e64 v67, 0, 1, s[0:1]
	v_cmp_ne_u32_e64 s[0:1], 0, v67
	v_xor_b32_e32 v61, s0, v61
	v_and_b32_e32 v60, v60, v61
	v_bfe_u32 v61, v57, 2, 1
	v_add_co_u32_e64 v61, s[0:1], -1, v61
	v_cndmask_b32_e64 v67, 0, 1, s[0:1]
	v_cmp_ne_u32_e64 s[0:1], 0, v67
	v_xor_b32_e32 v61, s0, v61
	v_and_b32_e32 v60, v60, v61
	v_bfe_u32 v61, v57, 3, 1
	;; [unrolled: 6-line block ×5, first 2 shown]
	v_add_co_u32_e64 v61, s[0:1], -1, v61
	v_cndmask_b32_e64 v67, 0, 1, s[0:1]
	v_cmp_ne_u32_e64 s[0:1], 0, v67
	v_xor_b32_e32 v61, s0, v61
	v_bfe_u32 v59, v15, s40, 8
	v_and_b32_e32 v60, v60, v61
	v_bfe_u32 v61, v57, 7, 1
	s_movk_i32 s8, 0x7f
	v_cmp_lt_u32_e64 s[0:1], s8, v59
	v_add_u32_e32 v61, -1, v61
	v_xor_b32_e32 v61, s0, v61
	v_lshlrev_b32_e32 v59, 4, v59
	v_and_b32_e32 v67, v60, v61
	v_or_b32_e32 v60, v27, v59
	s_waitcnt lgkmcnt(0)
	s_barrier
	ds_read_u16 v60, v60 offset:512
	v_ffbl_b32_e32 v61, v67
	v_cmp_ne_u32_e64 s[0:1], 0, v67
	v_cmp_eq_u32_e64 s[2:3], v61, v34
	s_and_b64 s[2:3], s[0:1], s[2:3]
	s_waitcnt lgkmcnt(0)
	s_barrier
	s_and_saveexec_b64 s[0:1], s[2:3]
; %bb.61:
	v_bcnt_u32_b32 v61, v67, v60
	v_add_u32_e32 v59, v27, v59
	ds_write_b16 v59, v61 offset:512
; %bb.62:
	s_or_b64 exec, exec, s[0:1]
	v_cndmask_b32_e64 v69, 0, 1, vcc
	v_cmp_ne_u32_e32 vcc, 0, v69
	v_bfe_u32 v69, v16, s40, 1
	v_add_co_u32_e64 v69, s[0:1], -1, v69
	v_cndmask_b32_e64 v70, 0, 1, s[0:1]
	v_lshrrev_b32_e32 v59, s40, v16
	v_cmp_ne_u32_e64 s[0:1], 0, v70
	v_xor_b32_e32 v69, s0, v69
	v_bfe_u32 v70, v59, 1, 1
	v_and_b32_e32 v69, vcc_lo, v69
	v_add_co_u32_e32 v70, vcc, -1, v70
	v_cndmask_b32_e64 v71, 0, 1, vcc
	v_cmp_ne_u32_e32 vcc, 0, v71
	v_xor_b32_e32 v70, vcc_lo, v70
	v_and_b32_e32 v69, v69, v70
	v_bfe_u32 v70, v59, 2, 1
	v_add_co_u32_e32 v70, vcc, -1, v70
	v_cndmask_b32_e64 v71, 0, 1, vcc
	v_cmp_ne_u32_e32 vcc, 0, v71
	v_xor_b32_e32 v70, vcc_lo, v70
	v_and_b32_e32 v69, v69, v70
	v_bfe_u32 v70, v59, 3, 1
	;; [unrolled: 6-line block ×5, first 2 shown]
	v_add_co_u32_e32 v70, vcc, -1, v70
	v_cndmask_b32_e64 v71, 0, 1, vcc
	v_cmp_ne_u32_e32 vcc, 0, v71
	v_xor_b32_e32 v70, vcc_lo, v70
	v_bfe_u32 v61, v16, s40, 8
	v_and_b32_e32 v69, v69, v70
	v_bfe_u32 v70, v59, 7, 1
	v_cmp_lt_u32_e32 vcc, s8, v61
	v_add_u32_e32 v70, -1, v70
	v_xor_b32_e32 v70, vcc_lo, v70
	v_and_b32_e32 v69, v69, v70
	v_lshlrev_b32_e32 v70, 4, v61
	v_or_b32_e32 v61, v27, v70
	s_waitcnt lgkmcnt(0)
	s_barrier
	ds_read_u16 v61, v61 offset:512
	v_ffbl_b32_e32 v71, v69
	v_cmp_ne_u32_e32 vcc, 0, v69
	v_cmp_eq_u32_e64 s[0:1], v71, v34
	v_lshlrev_b32_e64 v68, v34, -1
	s_and_b64 s[2:3], vcc, s[0:1]
	s_waitcnt lgkmcnt(0)
	s_barrier
	s_and_saveexec_b64 s[0:1], s[2:3]
; %bb.63:
	v_bcnt_u32_b32 v71, v69, v61
	v_add_u32_e32 v70, v27, v70
	ds_write_b16 v70, v71 offset:512
; %bb.64:
	s_or_b64 exec, exec, s[0:1]
	s_movk_i32 s0, 0x100
	v_not_b32_e32 v70, v68
	v_cmp_gt_u32_e32 vcc, s0, v0
	s_waitcnt lgkmcnt(0)
	s_barrier
	s_barrier
	s_and_saveexec_b64 s[0:1], vcc
	s_cbranch_execz .LBB3_66
; %bb.65:
	v_lshlrev_b32_e32 v68, 4, v0
	ds_read2_b32 v[71:72], v68 offset0:130 offset1:131
	ds_read2_b32 v[73:74], v68 offset0:128 offset1:129
	v_mad_i32_i24 v68, v0, -14, v68
	s_waitcnt lgkmcnt(0)
	v_pk_add_u16 v72, v74, v72
	v_pk_add_u16 v71, v73, v71
	;; [unrolled: 1-line block ×3, first 2 shown]
	v_add_u16_sdwa v71, v71, v71 dst_sel:DWORD dst_unused:UNUSED_PAD src0_sel:DWORD src1_sel:WORD_1
	ds_write_b16 v68, v71
.LBB3_66:
	s_or_b64 exec, exec, s[0:1]
	s_load_dwordx4 s[8:11], s[4:5], 0x18
	s_load_dwordx2 s[12:13], s[4:5], 0x28
	s_cmpk_gt_u32 s6, 0x3ff
	v_cmp_eq_u32_e64 s[0:1], 0, v0
	s_cselect_b64 s[2:3], -1, 0
	v_and_b32_e32 v17, v17, v70
	v_and_b32_e32 v18, v18, v70
	;; [unrolled: 1-line block ×16, first 2 shown]
	s_and_b64 s[2:3], s[0:1], s[2:3]
	s_and_saveexec_b64 s[4:5], s[2:3]
	s_cbranch_execz .LBB3_71
; %bb.67:
	v_mov_b32_e32 v62, 0
	s_branch .LBB3_69
.LBB3_68:                               ;   in Loop: Header=BB3_69 Depth=1
	s_or_b64 exec, exec, s[14:15]
	s_waitcnt vmcnt(0)
	v_readfirstlane_b32 s2, v63
	s_andn2_b32 s2, s2, 31
	s_addk_i32 s2, 0x3c0
	s_cmp_le_u32 s2, s6
	s_cbranch_scc0 .LBB3_71
.LBB3_69:                               ; =>This Inner Loop Header: Depth=1
	v_mbcnt_lo_u32_b32 v63, exec_lo, 0
	v_mbcnt_hi_u32_b32 v63, exec_hi, v63
	v_cmp_eq_u32_e64 s[2:3], 0, v63
                                        ; implicit-def: $vgpr63
	s_and_saveexec_b64 s[14:15], s[2:3]
	s_cbranch_execz .LBB3_68
; %bb.70:                               ;   in Loop: Header=BB3_69 Depth=1
	s_waitcnt lgkmcnt(0)
	global_load_dword v63, v62, s[12:13] glc
	s_branch .LBB3_68
.LBB3_71:
	s_or_b64 exec, exec, s[4:5]
	v_bcnt_u32_b32 v70, v17, 0
	v_bcnt_u32_b32 v71, v18, 0
	;; [unrolled: 1-line block ×16, first 2 shown]
	s_waitcnt lgkmcnt(0)
	s_barrier
	s_and_saveexec_b64 s[14:15], vcc
	s_cbranch_execz .LBB3_79
; %bb.72:
	s_lshl_b32 s2, s6, 8
	s_and_b32 s2, s2, 0x3ff00
	ds_read_u16 v17, v26
	s_and_b32 s18, s6, 0x3fffffff
	v_or_b32_e32 v19, s2, v0
	s_or_b32 s3, s18, 2.0
	v_lshlrev_b32_e32 v20, 3, v19
	v_mov_b32_e32 v18, s3
	v_mov_b32_e32 v21, s11
	v_add_co_u32_e64 v20, s[2:3], s10, v20
	v_addc_co_u32_e64 v21, s[2:3], 0, v21, s[2:3]
	v_mov_b32_e32 v19, 0
	s_waitcnt lgkmcnt(0)
	flat_store_dwordx2 v[20:21], v[17:18]
	s_waitcnt vmcnt(0)
	v_lshl_or_b32 v18, s41, 8, v0
	v_lshlrev_b64 v[22:23], 2, v[18:19]
	v_mov_b32_e32 v18, s9
	v_add_co_u32_e64 v22, s[2:3], s8, v22
	v_addc_co_u32_e64 v23, s[2:3], v18, v23, s[2:3]
	global_load_dword v18, v[22:23], off
	s_mov_b64 s[8:9], 0
	s_mov_b32 s19, s6
                                        ; implicit-def: $sgpr2_sgpr3
	s_branch .LBB3_74
.LBB3_73:                               ;   in Loop: Header=BB3_74 Depth=1
                                        ; implicit-def: $sgpr19
	s_and_b64 s[4:5], exec, s[2:3]
	s_or_b64 s[8:9], s[4:5], s[8:9]
	s_andn2_b64 exec, exec, s[8:9]
	s_cbranch_execz .LBB3_78
.LBB3_74:                               ; =>This Loop Header: Depth=1
                                        ;     Child Loop BB3_76 Depth 2
	s_or_b64 s[2:3], s[2:3], exec
	s_cmp_lt_i32 s19, 1
	s_cbranch_scc1 .LBB3_73
; %bb.75:                               ;   in Loop: Header=BB3_74 Depth=1
	s_add_i32 s19, s19, -1
	s_lshl_b32 s2, s19, 8
	s_and_b32 s2, s2, 0x3ff00
	v_or_b32_e32 v22, s2, v0
	s_sub_i32 s2, s6, s19
	v_lshlrev_b32_e32 v22, 3, v22
	s_cmp_eq_u32 s2, 64
	v_mov_b32_e32 v23, s11
	v_add_co_u32_e64 v22, s[2:3], s10, v22
	s_cselect_b32 s20, 2, 3
	v_addc_co_u32_e64 v23, s[2:3], 0, v23, s[2:3]
	s_mov_b64 s[16:17], 0
.LBB3_76:                               ;   Parent Loop BB3_74 Depth=1
                                        ; =>  This Inner Loop Header: Depth=2
	flat_load_dwordx2 v[24:25], v[22:23] glc
	s_waitcnt vmcnt(0) lgkmcnt(0)
	v_lshrrev_b32_e32 v78, 30, v25
	v_and_b32_e32 v25, 0x3fffffff, v25
	v_and_b32_e32 v79, s20, v78
	v_cmp_ne_u32_e64 s[2:3], 0, v79
	v_cmp_eq_u32_e64 s[4:5], s19, v25
	s_and_b64 s[2:3], s[2:3], s[4:5]
	s_and_b64 s[2:3], exec, s[2:3]
	s_or_b64 s[16:17], s[2:3], s[16:17]
	s_andn2_b64 exec, exec, s[16:17]
	s_cbranch_execnz .LBB3_76
; %bb.77:                               ;   in Loop: Header=BB3_74 Depth=1
	s_or_b64 exec, exec, s[16:17]
	v_add_u32_e32 v19, v19, v24
	v_cmp_eq_u32_e64 s[2:3], 2, v78
	s_and_b64 s[4:5], exec, s[2:3]
	s_or_b64 s[8:9], s[4:5], s[8:9]
	s_andn2_b64 exec, exec, s[8:9]
	s_cbranch_execnz .LBB3_74
.LBB3_78:
	s_or_b64 exec, exec, s[8:9]
	s_bitset1_b32 s18, 31
	v_add_u32_e32 v22, v19, v17
	v_mov_b32_e32 v23, s18
	s_waitcnt vmcnt(0)
	v_add_u32_e32 v17, v19, v18
	v_lshlrev_b32_e32 v18, 2, v0
	flat_store_dwordx2 v[20:21], v[22:23]
	s_waitcnt vmcnt(0)
	ds_write_b32 v18, v17 offset:20480
.LBB3_79:
	s_or_b64 exec, exec, s[14:15]
; %bb.80:
	s_waitcnt lgkmcnt(0)
	s_barrier
	s_and_saveexec_b64 s[2:3], s[0:1]
	s_cbranch_execz .LBB3_86
; %bb.81:
	v_mov_b32_e32 v17, 0
	s_branch .LBB3_83
.LBB3_82:                               ;   in Loop: Header=BB3_83 Depth=1
	s_or_b64 exec, exec, s[4:5]
	s_waitcnt vmcnt(0)
	v_readfirstlane_b32 s0, v18
	s_xor_b32 s0, s0, s6
	s_cmp_gt_u32 s0, 31
	s_cbranch_scc0 .LBB3_85
.LBB3_83:                               ; =>This Inner Loop Header: Depth=1
	v_mbcnt_lo_u32_b32 v18, exec_lo, 0
	v_mbcnt_hi_u32_b32 v18, exec_hi, v18
	v_cmp_eq_u32_e64 s[0:1], 0, v18
                                        ; implicit-def: $vgpr18
	s_and_saveexec_b64 s[4:5], s[0:1]
	s_cbranch_execz .LBB3_82
; %bb.84:                               ;   in Loop: Header=BB3_83 Depth=1
	global_load_dword v18, v17, s[12:13] glc
	s_branch .LBB3_82
.LBB3_85:
	s_add_i32 s0, s7, 0xfff
	s_lshr_b32 s0, s0, 12
	s_add_i32 s0, s0, -1
	v_mov_b32_e32 v17, 0
	v_mov_b32_e32 v18, s0
	global_atomic_inc v17, v18, s[12:13]
.LBB3_86:
	s_or_b64 exec, exec, s[2:3]
	s_movk_i32 s0, 0x100
	v_cmp_gt_u32_e64 s[0:1], s0, v0
	v_mov_b32_e32 v17, 0
	s_waitcnt vmcnt(0)
	s_barrier
	s_and_saveexec_b64 s[2:3], s[0:1]
; %bb.87:
	ds_read_u16 v17, v26
; %bb.88:
	s_or_b64 exec, exec, s[2:3]
	s_movk_i32 s2, 0xff00
	v_or_b32_e32 v19, 0xffffff00, v0
	v_cmp_lt_u32_e64 s[2:3], s2, v19
	s_waitcnt lgkmcnt(0)
	v_mov_b32_e32 v18, v17
	s_and_saveexec_b64 s[4:5], s[2:3]
	s_cbranch_execz .LBB3_90
; %bb.89:
	v_add_u32_e32 v18, -2, v26
	ds_read_u16 v18, v18
	s_waitcnt lgkmcnt(0)
	v_add_u16_e32 v18, v18, v17
.LBB3_90:
	s_or_b64 exec, exec, s[4:5]
	s_barrier
	s_and_saveexec_b64 s[2:3], s[0:1]
; %bb.91:
	ds_write_b16 v26, v18
; %bb.92:
	s_or_b64 exec, exec, s[2:3]
	s_movk_i32 s2, 0xff01
	v_cmp_lt_u32_e64 s[2:3], s2, v19
	s_waitcnt lgkmcnt(0)
	s_barrier
	s_and_saveexec_b64 s[4:5], s[2:3]
	s_cbranch_execz .LBB3_94
; %bb.93:
	v_add_u32_e32 v20, -4, v26
	ds_read_u16 v20, v20
	s_waitcnt lgkmcnt(0)
	v_add_u16_e32 v18, v20, v18
.LBB3_94:
	s_or_b64 exec, exec, s[4:5]
	s_barrier
	s_and_saveexec_b64 s[2:3], s[0:1]
; %bb.95:
	ds_write_b16 v26, v18
; %bb.96:
	s_or_b64 exec, exec, s[2:3]
	s_movk_i32 s2, 0xff03
	v_cmp_lt_u32_e64 s[2:3], s2, v19
	s_waitcnt lgkmcnt(0)
	s_barrier
	;; [unrolled: 19-line block ×4, first 2 shown]
	s_and_saveexec_b64 s[4:5], s[2:3]
	s_cbranch_execz .LBB3_106
; %bb.105:
	v_subrev_u32_e32 v20, 32, v26
	ds_read_u16 v20, v20
	s_waitcnt lgkmcnt(0)
	v_add_u16_e32 v18, v20, v18
.LBB3_106:
	s_or_b64 exec, exec, s[4:5]
	s_barrier
	s_and_saveexec_b64 s[2:3], s[0:1]
; %bb.107:
	ds_write_b16 v26, v18
; %bb.108:
	s_or_b64 exec, exec, s[2:3]
	s_movk_i32 s2, 0xff1f
	v_cmp_lt_u32_e64 s[2:3], s2, v19
	s_waitcnt lgkmcnt(0)
	s_barrier
	s_and_saveexec_b64 s[4:5], s[2:3]
	s_cbranch_execz .LBB3_110
; %bb.109:
	v_subrev_u32_e32 v20, 64, v26
	ds_read_u16 v20, v20
	s_waitcnt lgkmcnt(0)
	v_add_u16_e32 v18, v20, v18
.LBB3_110:
	s_or_b64 exec, exec, s[4:5]
	s_barrier
	s_and_saveexec_b64 s[2:3], s[0:1]
; %bb.111:
	ds_write_b16 v26, v18
; %bb.112:
	s_or_b64 exec, exec, s[2:3]
	s_movk_i32 s2, 0xff3f
	v_cmp_lt_u32_e64 s[2:3], s2, v19
	s_waitcnt lgkmcnt(0)
	s_barrier
	s_and_saveexec_b64 s[4:5], s[2:3]
	s_cbranch_execz .LBB3_114
; %bb.113:
	v_add_u32_e32 v19, 0xffffff80, v26
	ds_read_u16 v19, v19
	s_waitcnt lgkmcnt(0)
	v_add_u16_e32 v18, v19, v18
.LBB3_114:
	s_or_b64 exec, exec, s[4:5]
	s_barrier
	s_and_saveexec_b64 s[2:3], s[0:1]
; %bb.115:
	ds_write_b16 v26, v18
; %bb.116:
	s_or_b64 exec, exec, s[2:3]
	v_and_b32_e32 v19, 0x80, v0
	v_cmp_ne_u32_e64 s[2:3], 0, v19
	s_waitcnt lgkmcnt(0)
	s_barrier
	s_and_saveexec_b64 s[4:5], s[2:3]
	s_cbranch_execz .LBB3_118
; %bb.117:
	v_add_u32_e32 v19, 0xffffff00, v26
	ds_read_u16 v19, v19
	s_waitcnt lgkmcnt(0)
	v_add_u16_e32 v18, v19, v18
.LBB3_118:
	s_or_b64 exec, exec, s[4:5]
	s_barrier
	s_and_saveexec_b64 s[2:3], s[0:1]
; %bb.119:
	ds_write_b16 v26, v18
; %bb.120:
	s_or_b64 exec, exec, s[2:3]
	s_waitcnt lgkmcnt(0)
	s_barrier
	s_barrier
	s_and_saveexec_b64 s[2:3], s[0:1]
; %bb.121:
	v_sub_u16_e32 v17, v18, v17
	ds_write_b16 v26, v17
; %bb.122:
	s_or_b64 exec, exec, s[2:3]
	v_lshlrev_b32_e32 v78, 2, v0
	s_waitcnt lgkmcnt(0)
	s_barrier
	s_and_saveexec_b64 s[0:1], vcc
	s_cbranch_execz .LBB3_124
; %bb.123:
	v_lshlrev_b32_e32 v19, 2, v0
	ds_read_u16 v20, v26
	ds_read_b32 v21, v19 offset:20480
	v_mad_u32_u24 v22, v0, 14, v26
	ds_read2_b32 v[17:18], v22 offset0:128 offset1:129
	ds_read_b32 v23, v22 offset:520
	ds_read_u16 v24, v22 offset:524
	s_mov_b32 s2, 0x5040100
	s_waitcnt lgkmcnt(3)
	v_sub_u32_sdwa v21, v21, v20 dst_sel:DWORD dst_unused:UNUSED_PAD src0_sel:DWORD src1_sel:WORD_0
	ds_write_b32 v19, v21 offset:20480
	ds_write_b16 v22, v20 offset:512
	s_waitcnt lgkmcnt(4)
	v_add_u32_sdwa v20, v17, v20 dst_sel:DWORD dst_unused:UNUSED_PAD src0_sel:WORD_0 src1_sel:WORD_0
	v_add_u32_sdwa v17, v20, v17 dst_sel:DWORD dst_unused:UNUSED_PAD src0_sel:DWORD src1_sel:WORD_1
	v_add_u32_sdwa v19, v17, v18 dst_sel:DWORD dst_unused:UNUSED_PAD src0_sel:DWORD src1_sel:WORD_0
	v_add_u32_sdwa v18, v19, v18 dst_sel:DWORD dst_unused:UNUSED_PAD src0_sel:DWORD src1_sel:WORD_1
	s_waitcnt lgkmcnt(3)
	v_add_u16_e32 v21, v23, v18
	v_add_u16_sdwa v23, v23, v21 dst_sel:DWORD dst_unused:UNUSED_PAD src0_sel:WORD_1 src1_sel:DWORD
	v_perm_b32 v18, v18, v19, s2
	v_perm_b32 v19, v23, v21, s2
	;; [unrolled: 1-line block ×3, first 2 shown]
	ds_write_b96 v22, v[17:19] offset:514
	s_waitcnt lgkmcnt(3)
	v_add_u16_e32 v17, v24, v23
	ds_write_b16 v22, v17 offset:526
.LBB3_124:
	s_or_b64 exec, exec, s[0:1]
	v_and_b32_e32 v19, 0xffff, v35
	v_and_b32_e32 v18, 0xffff, v31
	;; [unrolled: 1-line block ×3, first 2 shown]
	v_lshlrev_b32_e32 v28, 4, v28
	s_movk_i32 s0, 0xff0
	v_lshlrev_b32_e32 v29, 4, v30
	v_lshlrev_b32_e32 v30, 4, v32
	v_lshlrev_b32_e32 v31, 4, v36
	v_lshlrev_b32_e32 v32, 4, v37
	v_lshlrev_b32_e32 v35, 4, v39
	v_lshlrev_b32_e32 v36, 4, v41
	v_lshlrev_b32_e32 v37, 4, v43
	v_and_or_b32 v28, v28, s0, v27
	v_and_or_b32 v29, v29, s0, v27
	;; [unrolled: 1-line block ×8, first 2 shown]
	s_waitcnt lgkmcnt(0)
	s_barrier
	ds_read_u16 v28, v28 offset:512
	ds_read_u16 v29, v29 offset:512
	;; [unrolled: 1-line block ×8, first 2 shown]
	v_and_b32_e32 v23, 0xffff, v44
	v_and_b32_e32 v22, 0xffff, v42
	v_and_b32_e32 v21, 0xffff, v40
	v_and_b32_e32 v20, 0xffff, v38
	v_and_b32_e32 v24, 0xffff, v46
	s_waitcnt lgkmcnt(7)
	v_add3_u32 v17, v70, v17, v28
	s_waitcnt lgkmcnt(6)
	v_add3_u32 v18, v71, v18, v29
	;; [unrolled: 2-line block ×7, first 2 shown]
	v_lshlrev_b32_e32 v28, 4, v45
	v_lshlrev_b32_e32 v29, 4, v47
	;; [unrolled: 1-line block ×7, first 2 shown]
	s_waitcnt lgkmcnt(0)
	v_add3_u32 v24, v77, v24, v37
	v_and_or_b32 v28, v28, s0, v27
	v_and_or_b32 v29, v29, s0, v27
	;; [unrolled: 1-line block ×7, first 2 shown]
	v_lshlrev_b32_e32 v37, 4, v59
	v_and_or_b32 v27, v37, s0, v27
	ds_read_u16 v28, v28 offset:512
	ds_read_u16 v29, v29 offset:512
	;; [unrolled: 1-line block ×8, first 2 shown]
	v_and_b32_e32 v61, 0xffff, v61
	v_and_b32_e32 v60, 0xffff, v60
	;; [unrolled: 1-line block ×8, first 2 shown]
	s_waitcnt lgkmcnt(7)
	v_add3_u32 v25, v62, v25, v28
	s_waitcnt lgkmcnt(6)
	v_add3_u32 v26, v63, v26, v29
	s_waitcnt lgkmcnt(5)
	v_add3_u32 v27, v64, v52, v30
	s_waitcnt lgkmcnt(4)
	v_add3_u32 v28, v65, v54, v31
	s_waitcnt lgkmcnt(3)
	v_add3_u32 v29, v66, v56, v32
	s_waitcnt lgkmcnt(2)
	v_add3_u32 v30, v67, v58, v35
	s_waitcnt lgkmcnt(1)
	v_add3_u32 v31, v68, v60, v36
	s_waitcnt lgkmcnt(0)
	v_add3_u32 v32, v69, v61, v37
	s_mov_b64 s[0:1], 0
	s_movk_i32 s6, 0x1df
	s_mov_b64 s[2:3], 0
	s_barrier
	s_branch .LBB3_126
.LBB3_125:                              ;   in Loop: Header=BB3_126 Depth=1
	s_or_b64 exec, exec, s[4:5]
	s_add_u32 s2, s2, 1
	v_add_u32_e32 v35, 32, v34
	s_addc_u32 s3, s3, 0
	v_cmp_lt_u32_e32 vcc, s6, v34
	s_or_b64 s[0:1], vcc, s[0:1]
	v_mov_b32_e32 v34, v35
	s_andn2_b64 exec, exec, s[0:1]
	s_cbranch_execz .LBB3_128
.LBB3_126:                              ; =>This Inner Loop Header: Depth=1
	v_add_u32_e32 v35, v33, v34
	v_cmp_gt_u32_e32 vcc, s7, v35
	s_and_saveexec_b64 s[4:5], vcc
	s_cbranch_execz .LBB3_125
; %bb.127:                              ;   in Loop: Header=BB3_126 Depth=1
	s_set_gpr_idx_on s2, gpr_idx(SRC0)
	v_mov_b32_e32 v35, v17
	s_set_gpr_idx_off
	v_lshlrev_b32_e32 v35, 2, v35
	s_set_gpr_idx_on s2, gpr_idx(SRC0)
	v_mov_b32_e32 v36, v1
	s_set_gpr_idx_off
	ds_write_b32 v35, v36
	s_branch .LBB3_125
.LBB3_128:
	s_or_b64 exec, exec, s[0:1]
	s_mov_b64 s[0:1], 0
	v_mov_b32_e32 v2, 0
	s_movk_i32 s4, 0xeff
	s_waitcnt lgkmcnt(0)
	s_barrier
	s_branch .LBB3_130
.LBB3_129:                              ;   in Loop: Header=BB3_130 Depth=1
	s_or_b64 exec, exec, s[2:3]
	v_add_u32_e32 v1, 0x100, v0
	v_cmp_lt_u32_e32 vcc, s4, v0
	v_add_u32_e32 v78, 0x400, v78
	s_or_b64 s[0:1], vcc, s[0:1]
	v_mov_b32_e32 v0, v1
	s_andn2_b64 exec, exec, s[0:1]
	s_cbranch_execz .LBB3_132
.LBB3_130:                              ; =>This Inner Loop Header: Depth=1
	v_add_u32_e32 v1, s33, v0
	v_cmp_gt_u32_e32 vcc, s7, v1
	s_and_saveexec_b64 s[2:3], vcc
	s_cbranch_execz .LBB3_129
; %bb.131:                              ;   in Loop: Header=BB3_130 Depth=1
	ds_read_b32 v5, v78
	v_mov_b32_e32 v6, s39
	s_waitcnt lgkmcnt(0)
	v_bfe_u32 v1, v5, s40, 8
	v_lshlrev_b32_e32 v1, 2, v1
	ds_read_b32 v1, v1 offset:20480
	s_waitcnt lgkmcnt(0)
	v_add_u32_e32 v1, v0, v1
	v_lshlrev_b64 v[3:4], 2, v[1:2]
	v_add_co_u32_e32 v3, vcc, s38, v3
	v_addc_co_u32_e32 v4, vcc, v6, v4, vcc
	global_store_dword v[3:4], v5, off
	s_branch .LBB3_129
.LBB3_132:
	s_endpgm
	.section	.rodata,"a",@progbits
	.p2align	6, 0x0
	.amdhsa_kernel OnesweepReorderKey64
		.amdhsa_group_segment_fixed_size 21504
		.amdhsa_private_segment_fixed_size 0
		.amdhsa_kernarg_size 56
		.amdhsa_user_sgpr_count 6
		.amdhsa_user_sgpr_private_segment_buffer 1
		.amdhsa_user_sgpr_dispatch_ptr 0
		.amdhsa_user_sgpr_queue_ptr 0
		.amdhsa_user_sgpr_kernarg_segment_ptr 1
		.amdhsa_user_sgpr_dispatch_id 0
		.amdhsa_user_sgpr_flat_scratch_init 0
		.amdhsa_user_sgpr_private_segment_size 0
		.amdhsa_uses_dynamic_stack 0
		.amdhsa_system_sgpr_private_segment_wavefront_offset 0
		.amdhsa_system_sgpr_workgroup_id_x 1
		.amdhsa_system_sgpr_workgroup_id_y 0
		.amdhsa_system_sgpr_workgroup_id_z 0
		.amdhsa_system_sgpr_workgroup_info 0
		.amdhsa_system_vgpr_workitem_id 0
		.amdhsa_next_free_vgpr 83
		.amdhsa_next_free_sgpr 98
		.amdhsa_reserve_vcc 1
		.amdhsa_reserve_flat_scratch 0
		.amdhsa_float_round_mode_32 0
		.amdhsa_float_round_mode_16_64 0
		.amdhsa_float_denorm_mode_32 3
		.amdhsa_float_denorm_mode_16_64 3
		.amdhsa_dx10_clamp 1
		.amdhsa_ieee_mode 1
		.amdhsa_fp16_overflow 0
		.amdhsa_exception_fp_ieee_invalid_op 0
		.amdhsa_exception_fp_denorm_src 0
		.amdhsa_exception_fp_ieee_div_zero 0
		.amdhsa_exception_fp_ieee_overflow 0
		.amdhsa_exception_fp_ieee_underflow 0
		.amdhsa_exception_fp_ieee_inexact 0
		.amdhsa_exception_int_div_zero 0
	.end_amdhsa_kernel
	.text
.Lfunc_end3:
	.size	OnesweepReorderKey64, .Lfunc_end3-OnesweepReorderKey64
                                        ; -- End function
	.set OnesweepReorderKey64.num_vgpr, 83
	.set OnesweepReorderKey64.num_agpr, 0
	.set OnesweepReorderKey64.numbered_sgpr, 43
	.set OnesweepReorderKey64.num_named_barrier, 0
	.set OnesweepReorderKey64.private_seg_size, 0
	.set OnesweepReorderKey64.uses_vcc, 1
	.set OnesweepReorderKey64.uses_flat_scratch, 0
	.set OnesweepReorderKey64.has_dyn_sized_stack, 0
	.set OnesweepReorderKey64.has_recursion, 0
	.set OnesweepReorderKey64.has_indirect_call, 0
	.section	.AMDGPU.csdata,"",@progbits
; Kernel info:
; codeLenInByte = 10732
; TotalNumSgprs: 47
; NumVgprs: 83
; ScratchSize: 0
; MemoryBound: 0
; FloatMode: 240
; IeeeMode: 1
; LDSByteSize: 21504 bytes/workgroup (compile time only)
; SGPRBlocks: 12
; VGPRBlocks: 20
; NumSGPRsForWavesPerEU: 102
; NumVGPRsForWavesPerEU: 83
; Occupancy: 3
; WaveLimiterHint : 0
; COMPUTE_PGM_RSRC2:SCRATCH_EN: 0
; COMPUTE_PGM_RSRC2:USER_SGPR: 6
; COMPUTE_PGM_RSRC2:TRAP_HANDLER: 0
; COMPUTE_PGM_RSRC2:TGID_X_EN: 1
; COMPUTE_PGM_RSRC2:TGID_Y_EN: 0
; COMPUTE_PGM_RSRC2:TGID_Z_EN: 0
; COMPUTE_PGM_RSRC2:TIDIG_COMP_CNT: 0
	.text
	.protected	OnesweepReorderKeyPair64 ; -- Begin function OnesweepReorderKeyPair64
	.globl	OnesweepReorderKeyPair64
	.p2align	8
	.type	OnesweepReorderKeyPair64,@function
OnesweepReorderKeyPair64:               ; @OnesweepReorderKeyPair64
; %bb.0:
	s_load_dwordx8 s[36:43], s[4:5], 0x0
	s_load_dword s7, s[4:5], 0x20
	v_lshrrev_b32_e32 v20, 5, v0
	s_lshl_b32 s33, s6, 12
	v_and_b32_e32 v36, 31, v0
	v_lshl_or_b32 v35, v20, 9, s33
	v_mov_b32_e32 v1, 0
	v_or_b32_e32 v18, v35, v36
	v_lshlrev_b32_e32 v26, 1, v0
	s_waitcnt lgkmcnt(0)
	v_cmp_gt_u32_e64 s[30:31], s7, v18
	v_mov_b32_e32 v2, v1
	v_mov_b32_e32 v3, v1
	;; [unrolled: 1-line block ×15, first 2 shown]
	ds_write_b16 v26, v1 offset:512
	ds_write_b16 v26, v1 offset:1024
	;; [unrolled: 1-line block ×8, first 2 shown]
	s_waitcnt lgkmcnt(0)
	s_barrier
	s_and_saveexec_b64 s[0:1], s[30:31]
	s_cbranch_execz .LBB4_2
; %bb.1:
	v_mov_b32_e32 v19, v1
	v_lshlrev_b64 v[2:3], 2, v[18:19]
	v_mov_b32_e32 v4, s37
	v_add_co_u32_e32 v2, vcc, s36, v2
	v_addc_co_u32_e32 v3, vcc, v4, v3, vcc
	global_load_dword v2, v[2:3], off
	v_mov_b32_e32 v3, v1
	v_mov_b32_e32 v4, v1
	;; [unrolled: 1-line block ×15, first 2 shown]
	s_waitcnt vmcnt(0)
	v_mov_b32_e32 v1, v2
	v_mov_b32_e32 v2, v3
	;; [unrolled: 1-line block ×16, first 2 shown]
.LBB4_2:
	s_or_b64 exec, exec, s[0:1]
	v_or_b32_e32 v17, 32, v18
	v_cmp_gt_u32_e64 s[28:29], s7, v17
	s_and_saveexec_b64 s[0:1], s[28:29]
	s_cbranch_execz .LBB4_4
; %bb.3:
	v_mov_b32_e32 v19, 0
	v_lshlrev_b64 v[21:22], 2, v[18:19]
	v_mov_b32_e32 v2, s37
	v_add_co_u32_e32 v21, vcc, s36, v21
	v_addc_co_u32_e32 v22, vcc, v2, v22, vcc
	global_load_dword v2, v[21:22], off offset:128
.LBB4_4:
	s_or_b64 exec, exec, s[0:1]
	v_or_b32_e32 v17, 64, v18
	v_cmp_gt_u32_e64 s[26:27], s7, v17
	s_and_saveexec_b64 s[0:1], s[26:27]
	s_cbranch_execz .LBB4_6
; %bb.5:
	v_mov_b32_e32 v19, 0
	v_lshlrev_b64 v[21:22], 2, v[18:19]
	v_mov_b32_e32 v3, s37
	v_add_co_u32_e32 v21, vcc, s36, v21
	v_addc_co_u32_e32 v22, vcc, v3, v22, vcc
	global_load_dword v3, v[21:22], off offset:256
.LBB4_6:
	s_or_b64 exec, exec, s[0:1]
	v_or_b32_e32 v17, 0x60, v18
	v_cmp_gt_u32_e64 s[24:25], s7, v17
	s_and_saveexec_b64 s[0:1], s[24:25]
	s_cbranch_execz .LBB4_8
; %bb.7:
	v_mov_b32_e32 v19, 0
	v_lshlrev_b64 v[21:22], 2, v[18:19]
	v_mov_b32_e32 v4, s37
	v_add_co_u32_e32 v21, vcc, s36, v21
	v_addc_co_u32_e32 v22, vcc, v4, v22, vcc
	global_load_dword v4, v[21:22], off offset:384
.LBB4_8:
	s_or_b64 exec, exec, s[0:1]
	v_or_b32_e32 v17, 0x80, v18
	v_cmp_gt_u32_e64 s[22:23], s7, v17
	s_and_saveexec_b64 s[0:1], s[22:23]
	s_cbranch_execz .LBB4_10
; %bb.9:
	v_mov_b32_e32 v19, 0
	v_lshlrev_b64 v[21:22], 2, v[18:19]
	v_mov_b32_e32 v5, s37
	v_add_co_u32_e32 v21, vcc, s36, v21
	v_addc_co_u32_e32 v22, vcc, v5, v22, vcc
	global_load_dword v5, v[21:22], off offset:512
.LBB4_10:
	s_or_b64 exec, exec, s[0:1]
	v_or_b32_e32 v17, 0xa0, v18
	v_cmp_gt_u32_e64 s[20:21], s7, v17
	s_and_saveexec_b64 s[0:1], s[20:21]
	s_cbranch_execz .LBB4_12
; %bb.11:
	v_mov_b32_e32 v19, 0
	v_lshlrev_b64 v[21:22], 2, v[18:19]
	v_mov_b32_e32 v6, s37
	v_add_co_u32_e32 v21, vcc, s36, v21
	v_addc_co_u32_e32 v22, vcc, v6, v22, vcc
	global_load_dword v6, v[21:22], off offset:640
.LBB4_12:
	s_or_b64 exec, exec, s[0:1]
	v_or_b32_e32 v17, 0xc0, v18
	v_cmp_gt_u32_e64 s[18:19], s7, v17
	s_and_saveexec_b64 s[0:1], s[18:19]
	s_cbranch_execz .LBB4_14
; %bb.13:
	v_mov_b32_e32 v19, 0
	v_lshlrev_b64 v[21:22], 2, v[18:19]
	v_mov_b32_e32 v7, s37
	v_add_co_u32_e32 v21, vcc, s36, v21
	v_addc_co_u32_e32 v22, vcc, v7, v22, vcc
	global_load_dword v7, v[21:22], off offset:768
.LBB4_14:
	s_or_b64 exec, exec, s[0:1]
	v_or_b32_e32 v17, 0xe0, v18
	v_cmp_gt_u32_e64 s[16:17], s7, v17
	s_and_saveexec_b64 s[0:1], s[16:17]
	s_cbranch_execz .LBB4_16
; %bb.15:
	v_mov_b32_e32 v19, 0
	v_lshlrev_b64 v[21:22], 2, v[18:19]
	v_mov_b32_e32 v8, s37
	v_add_co_u32_e32 v21, vcc, s36, v21
	v_addc_co_u32_e32 v22, vcc, v8, v22, vcc
	global_load_dword v8, v[21:22], off offset:896
.LBB4_16:
	s_or_b64 exec, exec, s[0:1]
	v_or_b32_e32 v17, 0x100, v18
	v_cmp_gt_u32_e64 s[14:15], s7, v17
	s_and_saveexec_b64 s[0:1], s[14:15]
	s_cbranch_execz .LBB4_18
; %bb.17:
	v_mov_b32_e32 v19, 0
	v_lshlrev_b64 v[21:22], 2, v[18:19]
	v_mov_b32_e32 v9, s37
	v_add_co_u32_e32 v21, vcc, s36, v21
	v_addc_co_u32_e32 v22, vcc, v9, v22, vcc
	global_load_dword v9, v[21:22], off offset:1024
.LBB4_18:
	s_or_b64 exec, exec, s[0:1]
	v_or_b32_e32 v17, 0x120, v18
	v_cmp_gt_u32_e64 s[12:13], s7, v17
	s_and_saveexec_b64 s[0:1], s[12:13]
	s_cbranch_execz .LBB4_20
; %bb.19:
	v_mov_b32_e32 v19, 0
	v_lshlrev_b64 v[21:22], 2, v[18:19]
	v_mov_b32_e32 v10, s37
	v_add_co_u32_e32 v21, vcc, s36, v21
	v_addc_co_u32_e32 v22, vcc, v10, v22, vcc
	global_load_dword v10, v[21:22], off offset:1152
.LBB4_20:
	s_or_b64 exec, exec, s[0:1]
	v_or_b32_e32 v17, 0x140, v18
	v_cmp_gt_u32_e64 s[10:11], s7, v17
	s_and_saveexec_b64 s[0:1], s[10:11]
	s_cbranch_execz .LBB4_22
; %bb.21:
	v_mov_b32_e32 v19, 0
	v_lshlrev_b64 v[21:22], 2, v[18:19]
	v_mov_b32_e32 v11, s37
	v_add_co_u32_e32 v21, vcc, s36, v21
	v_addc_co_u32_e32 v22, vcc, v11, v22, vcc
	global_load_dword v11, v[21:22], off offset:1280
.LBB4_22:
	s_or_b64 exec, exec, s[0:1]
	v_or_b32_e32 v17, 0x160, v18
	v_cmp_gt_u32_e64 s[8:9], s7, v17
	s_and_saveexec_b64 s[0:1], s[8:9]
	s_cbranch_execz .LBB4_24
; %bb.23:
	v_mov_b32_e32 v19, 0
	v_lshlrev_b64 v[21:22], 2, v[18:19]
	v_mov_b32_e32 v12, s37
	v_add_co_u32_e32 v21, vcc, s36, v21
	v_addc_co_u32_e32 v22, vcc, v12, v22, vcc
	global_load_dword v12, v[21:22], off offset:1408
.LBB4_24:
	s_or_b64 exec, exec, s[0:1]
	v_or_b32_e32 v17, 0x180, v18
	v_cmp_gt_u32_e64 s[34:35], s7, v17
	s_and_saveexec_b64 s[0:1], s[34:35]
	s_cbranch_execz .LBB4_26
; %bb.25:
	v_mov_b32_e32 v19, 0
	v_lshlrev_b64 v[21:22], 2, v[18:19]
	v_mov_b32_e32 v13, s37
	v_add_co_u32_e32 v21, vcc, s36, v21
	v_addc_co_u32_e32 v22, vcc, v13, v22, vcc
	global_load_dword v13, v[21:22], off offset:1536
.LBB4_26:
	s_or_b64 exec, exec, s[0:1]
	v_or_b32_e32 v17, 0x1a0, v18
	v_cmp_gt_u32_e64 s[2:3], s7, v17
	s_and_saveexec_b64 s[0:1], s[2:3]
	s_cbranch_execz .LBB4_28
; %bb.27:
	v_mov_b32_e32 v19, 0
	v_lshlrev_b64 v[21:22], 2, v[18:19]
	v_mov_b32_e32 v14, s37
	v_add_co_u32_e32 v21, vcc, s36, v21
	v_addc_co_u32_e32 v22, vcc, v14, v22, vcc
	global_load_dword v14, v[21:22], off offset:1664
.LBB4_28:
	s_or_b64 exec, exec, s[0:1]
	v_or_b32_e32 v17, 0x1c0, v18
	v_cmp_gt_u32_e64 s[0:1], s7, v17
	s_and_saveexec_b64 s[44:45], s[0:1]
	s_cbranch_execz .LBB4_30
; %bb.29:
	v_mov_b32_e32 v19, 0
	v_lshlrev_b64 v[21:22], 2, v[18:19]
	v_mov_b32_e32 v15, s37
	v_add_co_u32_e32 v21, vcc, s36, v21
	v_addc_co_u32_e32 v22, vcc, v15, v22, vcc
	global_load_dword v15, v[21:22], off offset:1792
.LBB4_30:
	s_or_b64 exec, exec, s[44:45]
	v_or_b32_e32 v17, 0x1e0, v18
	v_cmp_gt_u32_e32 vcc, s7, v17
	s_and_saveexec_b64 s[44:45], vcc
	s_cbranch_execz .LBB4_32
; %bb.31:
	v_mov_b32_e32 v19, 0
	v_lshlrev_b64 v[16:17], 2, v[18:19]
	v_mov_b32_e32 v18, s37
	v_add_co_u32_e64 v16, s[36:37], s36, v16
	v_addc_co_u32_e64 v17, s[36:37], v18, v17, s[36:37]
	global_load_dword v16, v[16:17], off offset:1920
.LBB4_32:
	s_or_b64 exec, exec, s[44:45]
	s_load_dwordx2 s[44:45], s[4:5], 0x40
	v_cndmask_b32_e64 v17, 0, 1, s[30:31]
	v_cmp_ne_u32_e64 s[30:31], 0, v17
	v_lshlrev_b32_e32 v27, 1, v20
	s_movk_i32 s46, 0x7f
	s_waitcnt lgkmcnt(0)
	s_lshl_b32 s31, s45, 3
	s_add_i32 s44, s31, s44
	v_bfe_u32 v17, v1, s44, 1
	v_add_co_u32_e64 v17, s[36:37], -1, v17
	v_cndmask_b32_e64 v19, 0, 1, s[36:37]
	v_lshrrev_b32_e32 v28, s44, v1
	v_cmp_ne_u32_e64 s[36:37], 0, v19
	v_xor_b32_e32 v17, s36, v17
	v_bfe_u32 v19, v28, 1, 1
	v_and_b32_e32 v17, s30, v17
	v_add_co_u32_e64 v19, s[30:31], -1, v19
	v_cndmask_b32_e64 v20, 0, 1, s[30:31]
	v_cmp_ne_u32_e64 s[30:31], 0, v20
	v_xor_b32_e32 v19, s30, v19
	v_and_b32_e32 v17, v17, v19
	v_bfe_u32 v19, v28, 2, 1
	v_add_co_u32_e64 v19, s[30:31], -1, v19
	v_cndmask_b32_e64 v20, 0, 1, s[30:31]
	v_cmp_ne_u32_e64 s[30:31], 0, v20
	v_xor_b32_e32 v19, s30, v19
	v_and_b32_e32 v17, v17, v19
	v_bfe_u32 v19, v28, 3, 1
	;; [unrolled: 6-line block ×5, first 2 shown]
	v_add_co_u32_e64 v19, s[30:31], -1, v19
	v_cndmask_b32_e64 v20, 0, 1, s[30:31]
	v_cmp_ne_u32_e64 s[30:31], 0, v20
	v_xor_b32_e32 v19, s30, v19
	v_bfe_u32 v18, v1, s44, 8
	v_and_b32_e32 v17, v17, v19
	v_bfe_u32 v19, v28, 7, 1
	v_cmp_lt_u32_e64 s[30:31], s46, v18
	v_add_u32_e32 v19, -1, v19
	v_xor_b32_e32 v19, s30, v19
	v_lshlrev_b32_e32 v18, 4, v18
	v_and_b32_e32 v17, v17, v19
	v_or_b32_e32 v19, v27, v18
	ds_read_u16 v29, v19 offset:512
	v_ffbl_b32_e32 v19, v17
	v_cmp_ne_u32_e64 s[30:31], 0, v17
	v_cmp_eq_u32_e64 s[36:37], v19, v36
	s_and_b64 s[36:37], s[30:31], s[36:37]
	s_waitcnt vmcnt(0) lgkmcnt(0)
	s_barrier
	s_and_saveexec_b64 s[30:31], s[36:37]
; %bb.33:
	v_bcnt_u32_b32 v19, v17, v29
	v_add_u32_e32 v18, v27, v18
	ds_write_b16 v18, v19 offset:512
; %bb.34:
	s_or_b64 exec, exec, s[30:31]
	v_cndmask_b32_e64 v18, 0, 1, s[28:29]
	v_cmp_ne_u32_e64 s[28:29], 0, v18
	v_bfe_u32 v18, v2, s44, 1
	v_add_co_u32_e64 v18, s[30:31], -1, v18
	v_cndmask_b32_e64 v20, 0, 1, s[30:31]
	v_lshrrev_b32_e32 v30, s44, v2
	v_cmp_ne_u32_e64 s[30:31], 0, v20
	v_xor_b32_e32 v18, s30, v18
	v_bfe_u32 v20, v30, 1, 1
	v_and_b32_e32 v18, s28, v18
	v_add_co_u32_e64 v20, s[28:29], -1, v20
	v_cndmask_b32_e64 v21, 0, 1, s[28:29]
	v_cmp_ne_u32_e64 s[28:29], 0, v21
	v_xor_b32_e32 v20, s28, v20
	v_and_b32_e32 v18, v18, v20
	v_bfe_u32 v20, v30, 2, 1
	v_add_co_u32_e64 v20, s[28:29], -1, v20
	v_cndmask_b32_e64 v21, 0, 1, s[28:29]
	v_cmp_ne_u32_e64 s[28:29], 0, v21
	v_xor_b32_e32 v20, s28, v20
	v_and_b32_e32 v18, v18, v20
	v_bfe_u32 v20, v30, 3, 1
	;; [unrolled: 6-line block ×5, first 2 shown]
	v_add_co_u32_e64 v20, s[28:29], -1, v20
	v_cndmask_b32_e64 v21, 0, 1, s[28:29]
	v_cmp_ne_u32_e64 s[28:29], 0, v21
	v_xor_b32_e32 v20, s28, v20
	v_bfe_u32 v19, v2, s44, 8
	v_and_b32_e32 v18, v18, v20
	v_bfe_u32 v20, v30, 7, 1
	v_cmp_lt_u32_e64 s[28:29], s46, v19
	v_add_u32_e32 v20, -1, v20
	v_xor_b32_e32 v20, s28, v20
	v_lshlrev_b32_e32 v19, 4, v19
	v_and_b32_e32 v18, v18, v20
	v_or_b32_e32 v20, v27, v19
	s_waitcnt lgkmcnt(0)
	s_barrier
	ds_read_u16 v31, v20 offset:512
	v_ffbl_b32_e32 v20, v18
	v_cmp_ne_u32_e64 s[28:29], 0, v18
	v_cmp_eq_u32_e64 s[30:31], v20, v36
	s_and_b64 s[30:31], s[28:29], s[30:31]
	s_waitcnt lgkmcnt(0)
	s_barrier
	s_and_saveexec_b64 s[28:29], s[30:31]
; %bb.35:
	v_bcnt_u32_b32 v20, v18, v31
	v_add_u32_e32 v19, v27, v19
	ds_write_b16 v19, v20 offset:512
; %bb.36:
	s_or_b64 exec, exec, s[28:29]
	v_cndmask_b32_e64 v19, 0, 1, s[26:27]
	v_cmp_ne_u32_e64 s[26:27], 0, v19
	v_bfe_u32 v19, v3, s44, 1
	v_add_co_u32_e64 v19, s[28:29], -1, v19
	v_cndmask_b32_e64 v21, 0, 1, s[28:29]
	v_lshrrev_b32_e32 v32, s44, v3
	v_cmp_ne_u32_e64 s[28:29], 0, v21
	v_xor_b32_e32 v19, s28, v19
	v_bfe_u32 v21, v32, 1, 1
	v_and_b32_e32 v19, s26, v19
	v_add_co_u32_e64 v21, s[26:27], -1, v21
	v_cndmask_b32_e64 v22, 0, 1, s[26:27]
	v_cmp_ne_u32_e64 s[26:27], 0, v22
	v_xor_b32_e32 v21, s26, v21
	v_and_b32_e32 v19, v19, v21
	v_bfe_u32 v21, v32, 2, 1
	v_add_co_u32_e64 v21, s[26:27], -1, v21
	v_cndmask_b32_e64 v22, 0, 1, s[26:27]
	v_cmp_ne_u32_e64 s[26:27], 0, v22
	v_xor_b32_e32 v21, s26, v21
	v_and_b32_e32 v19, v19, v21
	v_bfe_u32 v21, v32, 3, 1
	;; [unrolled: 6-line block ×5, first 2 shown]
	v_add_co_u32_e64 v21, s[26:27], -1, v21
	v_cndmask_b32_e64 v22, 0, 1, s[26:27]
	v_cmp_ne_u32_e64 s[26:27], 0, v22
	v_xor_b32_e32 v21, s26, v21
	v_bfe_u32 v20, v3, s44, 8
	v_and_b32_e32 v19, v19, v21
	v_bfe_u32 v21, v32, 7, 1
	s_movk_i32 s30, 0x7f
	v_cmp_lt_u32_e64 s[26:27], s30, v20
	v_add_u32_e32 v21, -1, v21
	v_xor_b32_e32 v21, s26, v21
	v_lshlrev_b32_e32 v20, 4, v20
	v_and_b32_e32 v19, v19, v21
	v_or_b32_e32 v21, v27, v20
	s_waitcnt lgkmcnt(0)
	s_barrier
	ds_read_u16 v33, v21 offset:512
	v_ffbl_b32_e32 v21, v19
	v_cmp_ne_u32_e64 s[26:27], 0, v19
	v_cmp_eq_u32_e64 s[28:29], v21, v36
	s_and_b64 s[28:29], s[26:27], s[28:29]
	s_waitcnt lgkmcnt(0)
	s_barrier
	s_and_saveexec_b64 s[26:27], s[28:29]
; %bb.37:
	v_bcnt_u32_b32 v21, v19, v33
	v_add_u32_e32 v20, v27, v20
	ds_write_b16 v20, v21 offset:512
; %bb.38:
	s_or_b64 exec, exec, s[26:27]
	v_cndmask_b32_e64 v20, 0, 1, s[24:25]
	v_cmp_ne_u32_e64 s[24:25], 0, v20
	v_bfe_u32 v20, v4, s44, 1
	v_add_co_u32_e64 v20, s[26:27], -1, v20
	v_cndmask_b32_e64 v22, 0, 1, s[26:27]
	v_lshrrev_b32_e32 v34, s44, v4
	v_cmp_ne_u32_e64 s[26:27], 0, v22
	v_xor_b32_e32 v20, s26, v20
	v_bfe_u32 v22, v34, 1, 1
	v_and_b32_e32 v20, s24, v20
	v_add_co_u32_e64 v22, s[24:25], -1, v22
	v_cndmask_b32_e64 v23, 0, 1, s[24:25]
	v_cmp_ne_u32_e64 s[24:25], 0, v23
	v_xor_b32_e32 v22, s24, v22
	v_and_b32_e32 v20, v20, v22
	v_bfe_u32 v22, v34, 2, 1
	v_add_co_u32_e64 v22, s[24:25], -1, v22
	v_cndmask_b32_e64 v23, 0, 1, s[24:25]
	v_cmp_ne_u32_e64 s[24:25], 0, v23
	v_xor_b32_e32 v22, s24, v22
	v_and_b32_e32 v20, v20, v22
	v_bfe_u32 v22, v34, 3, 1
	;; [unrolled: 6-line block ×5, first 2 shown]
	v_add_co_u32_e64 v22, s[24:25], -1, v22
	v_cndmask_b32_e64 v23, 0, 1, s[24:25]
	v_cmp_ne_u32_e64 s[24:25], 0, v23
	v_xor_b32_e32 v22, s24, v22
	v_bfe_u32 v21, v4, s44, 8
	v_and_b32_e32 v20, v20, v22
	v_bfe_u32 v22, v34, 7, 1
	v_cmp_lt_u32_e64 s[24:25], s30, v21
	v_add_u32_e32 v22, -1, v22
	v_xor_b32_e32 v22, s24, v22
	v_lshlrev_b32_e32 v21, 4, v21
	v_and_b32_e32 v20, v20, v22
	v_or_b32_e32 v22, v27, v21
	s_waitcnt lgkmcnt(0)
	s_barrier
	ds_read_u16 v38, v22 offset:512
	v_ffbl_b32_e32 v22, v20
	v_cmp_ne_u32_e64 s[24:25], 0, v20
	v_cmp_eq_u32_e64 s[26:27], v22, v36
	s_and_b64 s[26:27], s[24:25], s[26:27]
	s_waitcnt lgkmcnt(0)
	s_barrier
	s_and_saveexec_b64 s[24:25], s[26:27]
; %bb.39:
	v_bcnt_u32_b32 v22, v20, v38
	v_add_u32_e32 v21, v27, v21
	ds_write_b16 v21, v22 offset:512
; %bb.40:
	s_or_b64 exec, exec, s[24:25]
	v_cndmask_b32_e64 v21, 0, 1, s[22:23]
	v_cmp_ne_u32_e64 s[22:23], 0, v21
	v_bfe_u32 v21, v5, s44, 1
	v_add_co_u32_e64 v21, s[24:25], -1, v21
	v_cndmask_b32_e64 v23, 0, 1, s[24:25]
	v_lshrrev_b32_e32 v37, s44, v5
	v_cmp_ne_u32_e64 s[24:25], 0, v23
	v_xor_b32_e32 v21, s24, v21
	v_bfe_u32 v23, v37, 1, 1
	v_and_b32_e32 v21, s22, v21
	v_add_co_u32_e64 v23, s[22:23], -1, v23
	v_cndmask_b32_e64 v24, 0, 1, s[22:23]
	v_cmp_ne_u32_e64 s[22:23], 0, v24
	v_xor_b32_e32 v23, s22, v23
	v_and_b32_e32 v21, v21, v23
	v_bfe_u32 v23, v37, 2, 1
	v_add_co_u32_e64 v23, s[22:23], -1, v23
	v_cndmask_b32_e64 v24, 0, 1, s[22:23]
	v_cmp_ne_u32_e64 s[22:23], 0, v24
	v_xor_b32_e32 v23, s22, v23
	v_and_b32_e32 v21, v21, v23
	v_bfe_u32 v23, v37, 3, 1
	;; [unrolled: 6-line block ×5, first 2 shown]
	v_add_co_u32_e64 v23, s[22:23], -1, v23
	v_cndmask_b32_e64 v24, 0, 1, s[22:23]
	v_cmp_ne_u32_e64 s[22:23], 0, v24
	v_xor_b32_e32 v23, s22, v23
	v_bfe_u32 v22, v5, s44, 8
	v_and_b32_e32 v21, v21, v23
	v_bfe_u32 v23, v37, 7, 1
	s_movk_i32 s26, 0x7f
	v_cmp_lt_u32_e64 s[22:23], s26, v22
	v_add_u32_e32 v23, -1, v23
	v_xor_b32_e32 v23, s22, v23
	v_lshlrev_b32_e32 v22, 4, v22
	v_and_b32_e32 v21, v21, v23
	v_or_b32_e32 v23, v27, v22
	s_waitcnt lgkmcnt(0)
	s_barrier
	ds_read_u16 v40, v23 offset:512
	v_ffbl_b32_e32 v23, v21
	v_cmp_ne_u32_e64 s[22:23], 0, v21
	v_cmp_eq_u32_e64 s[24:25], v23, v36
	s_and_b64 s[24:25], s[22:23], s[24:25]
	s_waitcnt lgkmcnt(0)
	s_barrier
	s_and_saveexec_b64 s[22:23], s[24:25]
; %bb.41:
	v_bcnt_u32_b32 v23, v21, v40
	v_add_u32_e32 v22, v27, v22
	ds_write_b16 v22, v23 offset:512
; %bb.42:
	s_or_b64 exec, exec, s[22:23]
	v_cndmask_b32_e64 v22, 0, 1, s[20:21]
	v_cmp_ne_u32_e64 s[20:21], 0, v22
	v_bfe_u32 v22, v6, s44, 1
	v_add_co_u32_e64 v22, s[22:23], -1, v22
	v_cndmask_b32_e64 v24, 0, 1, s[22:23]
	v_lshrrev_b32_e32 v39, s44, v6
	v_cmp_ne_u32_e64 s[22:23], 0, v24
	v_xor_b32_e32 v22, s22, v22
	v_bfe_u32 v24, v39, 1, 1
	v_and_b32_e32 v22, s20, v22
	v_add_co_u32_e64 v24, s[20:21], -1, v24
	v_cndmask_b32_e64 v25, 0, 1, s[20:21]
	v_cmp_ne_u32_e64 s[20:21], 0, v25
	v_xor_b32_e32 v24, s20, v24
	v_and_b32_e32 v22, v22, v24
	v_bfe_u32 v24, v39, 2, 1
	v_add_co_u32_e64 v24, s[20:21], -1, v24
	v_cndmask_b32_e64 v25, 0, 1, s[20:21]
	v_cmp_ne_u32_e64 s[20:21], 0, v25
	v_xor_b32_e32 v24, s20, v24
	v_and_b32_e32 v22, v22, v24
	v_bfe_u32 v24, v39, 3, 1
	;; [unrolled: 6-line block ×5, first 2 shown]
	v_add_co_u32_e64 v24, s[20:21], -1, v24
	v_cndmask_b32_e64 v25, 0, 1, s[20:21]
	v_cmp_ne_u32_e64 s[20:21], 0, v25
	v_xor_b32_e32 v24, s20, v24
	v_bfe_u32 v23, v6, s44, 8
	v_and_b32_e32 v22, v22, v24
	v_bfe_u32 v24, v39, 7, 1
	v_cmp_lt_u32_e64 s[20:21], s26, v23
	v_add_u32_e32 v24, -1, v24
	v_xor_b32_e32 v24, s20, v24
	v_lshlrev_b32_e32 v23, 4, v23
	v_and_b32_e32 v22, v22, v24
	v_or_b32_e32 v24, v27, v23
	s_waitcnt lgkmcnt(0)
	s_barrier
	ds_read_u16 v42, v24 offset:512
	v_ffbl_b32_e32 v24, v22
	v_cmp_ne_u32_e64 s[20:21], 0, v22
	v_cmp_eq_u32_e64 s[22:23], v24, v36
	s_and_b64 s[22:23], s[20:21], s[22:23]
	s_waitcnt lgkmcnt(0)
	s_barrier
	s_and_saveexec_b64 s[20:21], s[22:23]
; %bb.43:
	v_bcnt_u32_b32 v24, v22, v42
	v_add_u32_e32 v23, v27, v23
	ds_write_b16 v23, v24 offset:512
; %bb.44:
	s_or_b64 exec, exec, s[20:21]
	v_cndmask_b32_e64 v23, 0, 1, s[18:19]
	v_cmp_ne_u32_e64 s[18:19], 0, v23
	v_bfe_u32 v23, v7, s44, 1
	v_add_co_u32_e64 v23, s[20:21], -1, v23
	v_cndmask_b32_e64 v25, 0, 1, s[20:21]
	v_lshrrev_b32_e32 v41, s44, v7
	v_cmp_ne_u32_e64 s[20:21], 0, v25
	v_xor_b32_e32 v23, s20, v23
	v_bfe_u32 v25, v41, 1, 1
	v_and_b32_e32 v23, s18, v23
	v_add_co_u32_e64 v25, s[18:19], -1, v25
	v_cndmask_b32_e64 v43, 0, 1, s[18:19]
	v_cmp_ne_u32_e64 s[18:19], 0, v43
	v_xor_b32_e32 v25, s18, v25
	v_and_b32_e32 v23, v23, v25
	v_bfe_u32 v25, v41, 2, 1
	v_add_co_u32_e64 v25, s[18:19], -1, v25
	v_cndmask_b32_e64 v43, 0, 1, s[18:19]
	v_cmp_ne_u32_e64 s[18:19], 0, v43
	v_xor_b32_e32 v25, s18, v25
	v_and_b32_e32 v23, v23, v25
	v_bfe_u32 v25, v41, 3, 1
	;; [unrolled: 6-line block ×5, first 2 shown]
	v_add_co_u32_e64 v25, s[18:19], -1, v25
	v_cndmask_b32_e64 v43, 0, 1, s[18:19]
	v_cmp_ne_u32_e64 s[18:19], 0, v43
	v_xor_b32_e32 v25, s18, v25
	v_bfe_u32 v24, v7, s44, 8
	v_and_b32_e32 v23, v23, v25
	v_bfe_u32 v25, v41, 7, 1
	s_movk_i32 s22, 0x7f
	v_cmp_lt_u32_e64 s[18:19], s22, v24
	v_add_u32_e32 v25, -1, v25
	v_xor_b32_e32 v25, s18, v25
	v_lshlrev_b32_e32 v24, 4, v24
	v_and_b32_e32 v23, v23, v25
	v_or_b32_e32 v25, v27, v24
	s_waitcnt lgkmcnt(0)
	s_barrier
	ds_read_u16 v44, v25 offset:512
	v_ffbl_b32_e32 v25, v23
	v_cmp_ne_u32_e64 s[18:19], 0, v23
	v_cmp_eq_u32_e64 s[20:21], v25, v36
	s_and_b64 s[20:21], s[18:19], s[20:21]
	s_waitcnt lgkmcnt(0)
	s_barrier
	s_and_saveexec_b64 s[18:19], s[20:21]
; %bb.45:
	v_bcnt_u32_b32 v25, v23, v44
	v_add_u32_e32 v24, v27, v24
	ds_write_b16 v24, v25 offset:512
; %bb.46:
	s_or_b64 exec, exec, s[18:19]
	v_cndmask_b32_e64 v24, 0, 1, s[16:17]
	v_cmp_ne_u32_e64 s[16:17], 0, v24
	v_bfe_u32 v24, v8, s44, 1
	v_add_co_u32_e64 v24, s[18:19], -1, v24
	v_cndmask_b32_e64 v45, 0, 1, s[18:19]
	v_lshrrev_b32_e32 v43, s44, v8
	v_cmp_ne_u32_e64 s[18:19], 0, v45
	v_xor_b32_e32 v24, s18, v24
	v_bfe_u32 v45, v43, 1, 1
	v_and_b32_e32 v24, s16, v24
	v_add_co_u32_e64 v45, s[16:17], -1, v45
	v_cndmask_b32_e64 v46, 0, 1, s[16:17]
	v_cmp_ne_u32_e64 s[16:17], 0, v46
	v_xor_b32_e32 v45, s16, v45
	v_and_b32_e32 v24, v24, v45
	v_bfe_u32 v45, v43, 2, 1
	v_add_co_u32_e64 v45, s[16:17], -1, v45
	v_cndmask_b32_e64 v46, 0, 1, s[16:17]
	v_cmp_ne_u32_e64 s[16:17], 0, v46
	v_xor_b32_e32 v45, s16, v45
	v_and_b32_e32 v24, v24, v45
	v_bfe_u32 v45, v43, 3, 1
	;; [unrolled: 6-line block ×5, first 2 shown]
	v_add_co_u32_e64 v45, s[16:17], -1, v45
	v_cndmask_b32_e64 v46, 0, 1, s[16:17]
	v_cmp_ne_u32_e64 s[16:17], 0, v46
	v_xor_b32_e32 v45, s16, v45
	v_bfe_u32 v25, v8, s44, 8
	v_and_b32_e32 v24, v24, v45
	v_bfe_u32 v45, v43, 7, 1
	v_cmp_lt_u32_e64 s[16:17], s22, v25
	v_add_u32_e32 v45, -1, v45
	v_xor_b32_e32 v45, s16, v45
	v_lshlrev_b32_e32 v25, 4, v25
	v_and_b32_e32 v24, v24, v45
	v_or_b32_e32 v45, v27, v25
	s_waitcnt lgkmcnt(0)
	s_barrier
	ds_read_u16 v46, v45 offset:512
	v_ffbl_b32_e32 v45, v24
	v_cmp_ne_u32_e64 s[16:17], 0, v24
	v_cmp_eq_u32_e64 s[18:19], v45, v36
	s_and_b64 s[18:19], s[16:17], s[18:19]
	s_waitcnt lgkmcnt(0)
	s_barrier
	s_and_saveexec_b64 s[16:17], s[18:19]
; %bb.47:
	v_bcnt_u32_b32 v45, v24, v46
	v_add_u32_e32 v25, v27, v25
	ds_write_b16 v25, v45 offset:512
; %bb.48:
	s_or_b64 exec, exec, s[16:17]
	v_cndmask_b32_e64 v25, 0, 1, s[14:15]
	v_cmp_ne_u32_e64 s[14:15], 0, v25
	v_bfe_u32 v25, v9, s44, 1
	v_add_co_u32_e64 v25, s[16:17], -1, v25
	v_cndmask_b32_e64 v48, 0, 1, s[16:17]
	v_lshrrev_b32_e32 v45, s44, v9
	v_cmp_ne_u32_e64 s[16:17], 0, v48
	v_xor_b32_e32 v25, s16, v25
	v_bfe_u32 v48, v45, 1, 1
	v_and_b32_e32 v25, s14, v25
	v_add_co_u32_e64 v48, s[14:15], -1, v48
	v_cndmask_b32_e64 v49, 0, 1, s[14:15]
	v_cmp_ne_u32_e64 s[14:15], 0, v49
	v_xor_b32_e32 v48, s14, v48
	v_and_b32_e32 v25, v25, v48
	v_bfe_u32 v48, v45, 2, 1
	v_add_co_u32_e64 v48, s[14:15], -1, v48
	v_cndmask_b32_e64 v49, 0, 1, s[14:15]
	v_cmp_ne_u32_e64 s[14:15], 0, v49
	v_xor_b32_e32 v48, s14, v48
	v_and_b32_e32 v25, v25, v48
	v_bfe_u32 v48, v45, 3, 1
	;; [unrolled: 6-line block ×5, first 2 shown]
	v_add_co_u32_e64 v48, s[14:15], -1, v48
	v_cndmask_b32_e64 v49, 0, 1, s[14:15]
	v_cmp_ne_u32_e64 s[14:15], 0, v49
	v_xor_b32_e32 v48, s14, v48
	v_bfe_u32 v47, v9, s44, 8
	v_and_b32_e32 v25, v25, v48
	v_bfe_u32 v48, v45, 7, 1
	s_movk_i32 s18, 0x7f
	v_cmp_lt_u32_e64 s[14:15], s18, v47
	v_add_u32_e32 v48, -1, v48
	v_xor_b32_e32 v48, s14, v48
	v_lshlrev_b32_e32 v47, 4, v47
	v_and_b32_e32 v25, v25, v48
	v_or_b32_e32 v48, v27, v47
	s_waitcnt lgkmcnt(0)
	s_barrier
	ds_read_u16 v48, v48 offset:512
	v_ffbl_b32_e32 v49, v25
	v_cmp_ne_u32_e64 s[14:15], 0, v25
	v_cmp_eq_u32_e64 s[16:17], v49, v36
	s_and_b64 s[16:17], s[14:15], s[16:17]
	s_waitcnt lgkmcnt(0)
	s_barrier
	s_and_saveexec_b64 s[14:15], s[16:17]
; %bb.49:
	v_bcnt_u32_b32 v49, v25, v48
	v_add_u32_e32 v47, v27, v47
	ds_write_b16 v47, v49 offset:512
; %bb.50:
	s_or_b64 exec, exec, s[14:15]
	v_cndmask_b32_e64 v50, 0, 1, s[12:13]
	v_cmp_ne_u32_e64 s[12:13], 0, v50
	v_bfe_u32 v50, v10, s44, 1
	v_add_co_u32_e64 v50, s[14:15], -1, v50
	v_cndmask_b32_e64 v51, 0, 1, s[14:15]
	v_lshrrev_b32_e32 v47, s44, v10
	v_cmp_ne_u32_e64 s[14:15], 0, v51
	v_xor_b32_e32 v50, s14, v50
	v_bfe_u32 v51, v47, 1, 1
	v_and_b32_e32 v50, s12, v50
	v_add_co_u32_e64 v51, s[12:13], -1, v51
	v_cndmask_b32_e64 v52, 0, 1, s[12:13]
	v_cmp_ne_u32_e64 s[12:13], 0, v52
	v_xor_b32_e32 v51, s12, v51
	v_and_b32_e32 v50, v50, v51
	v_bfe_u32 v51, v47, 2, 1
	v_add_co_u32_e64 v51, s[12:13], -1, v51
	v_cndmask_b32_e64 v52, 0, 1, s[12:13]
	v_cmp_ne_u32_e64 s[12:13], 0, v52
	v_xor_b32_e32 v51, s12, v51
	v_and_b32_e32 v50, v50, v51
	v_bfe_u32 v51, v47, 3, 1
	;; [unrolled: 6-line block ×5, first 2 shown]
	v_add_co_u32_e64 v51, s[12:13], -1, v51
	v_cndmask_b32_e64 v52, 0, 1, s[12:13]
	v_cmp_ne_u32_e64 s[12:13], 0, v52
	v_xor_b32_e32 v51, s12, v51
	v_bfe_u32 v49, v10, s44, 8
	v_and_b32_e32 v50, v50, v51
	v_bfe_u32 v51, v47, 7, 1
	v_cmp_lt_u32_e64 s[12:13], s18, v49
	v_add_u32_e32 v51, -1, v51
	v_xor_b32_e32 v51, s12, v51
	v_lshlrev_b32_e32 v49, 4, v49
	v_and_b32_e32 v62, v50, v51
	v_or_b32_e32 v50, v27, v49
	s_waitcnt lgkmcnt(0)
	s_barrier
	ds_read_u16 v50, v50 offset:512
	v_ffbl_b32_e32 v51, v62
	v_cmp_ne_u32_e64 s[12:13], 0, v62
	v_cmp_eq_u32_e64 s[14:15], v51, v36
	s_and_b64 s[14:15], s[12:13], s[14:15]
	s_waitcnt lgkmcnt(0)
	s_barrier
	s_and_saveexec_b64 s[12:13], s[14:15]
; %bb.51:
	v_bcnt_u32_b32 v51, v62, v50
	v_add_u32_e32 v49, v27, v49
	ds_write_b16 v49, v51 offset:512
; %bb.52:
	s_or_b64 exec, exec, s[12:13]
	v_cndmask_b32_e64 v52, 0, 1, s[10:11]
	v_cmp_ne_u32_e64 s[10:11], 0, v52
	v_bfe_u32 v52, v11, s44, 1
	v_add_co_u32_e64 v52, s[12:13], -1, v52
	v_cndmask_b32_e64 v53, 0, 1, s[12:13]
	v_lshrrev_b32_e32 v49, s44, v11
	v_cmp_ne_u32_e64 s[12:13], 0, v53
	v_xor_b32_e32 v52, s12, v52
	v_bfe_u32 v53, v49, 1, 1
	v_and_b32_e32 v52, s10, v52
	v_add_co_u32_e64 v53, s[10:11], -1, v53
	v_cndmask_b32_e64 v54, 0, 1, s[10:11]
	v_cmp_ne_u32_e64 s[10:11], 0, v54
	v_xor_b32_e32 v53, s10, v53
	v_and_b32_e32 v52, v52, v53
	v_bfe_u32 v53, v49, 2, 1
	v_add_co_u32_e64 v53, s[10:11], -1, v53
	v_cndmask_b32_e64 v54, 0, 1, s[10:11]
	v_cmp_ne_u32_e64 s[10:11], 0, v54
	v_xor_b32_e32 v53, s10, v53
	v_and_b32_e32 v52, v52, v53
	v_bfe_u32 v53, v49, 3, 1
	;; [unrolled: 6-line block ×5, first 2 shown]
	v_add_co_u32_e64 v53, s[10:11], -1, v53
	v_cndmask_b32_e64 v54, 0, 1, s[10:11]
	v_cmp_ne_u32_e64 s[10:11], 0, v54
	v_xor_b32_e32 v53, s10, v53
	v_bfe_u32 v51, v11, s44, 8
	v_and_b32_e32 v52, v52, v53
	v_bfe_u32 v53, v49, 7, 1
	s_movk_i32 s14, 0x7f
	v_cmp_lt_u32_e64 s[10:11], s14, v51
	v_add_u32_e32 v53, -1, v53
	v_xor_b32_e32 v53, s10, v53
	v_lshlrev_b32_e32 v51, 4, v51
	v_and_b32_e32 v63, v52, v53
	v_or_b32_e32 v52, v27, v51
	s_waitcnt lgkmcnt(0)
	s_barrier
	ds_read_u16 v52, v52 offset:512
	v_ffbl_b32_e32 v53, v63
	v_cmp_ne_u32_e64 s[10:11], 0, v63
	v_cmp_eq_u32_e64 s[12:13], v53, v36
	s_and_b64 s[12:13], s[10:11], s[12:13]
	s_waitcnt lgkmcnt(0)
	s_barrier
	s_and_saveexec_b64 s[10:11], s[12:13]
; %bb.53:
	v_bcnt_u32_b32 v53, v63, v52
	v_add_u32_e32 v51, v27, v51
	ds_write_b16 v51, v53 offset:512
; %bb.54:
	s_or_b64 exec, exec, s[10:11]
	v_cndmask_b32_e64 v54, 0, 1, s[8:9]
	v_cmp_ne_u32_e64 s[8:9], 0, v54
	v_bfe_u32 v54, v12, s44, 1
	v_add_co_u32_e64 v54, s[10:11], -1, v54
	v_cndmask_b32_e64 v55, 0, 1, s[10:11]
	v_lshrrev_b32_e32 v51, s44, v12
	v_cmp_ne_u32_e64 s[10:11], 0, v55
	v_xor_b32_e32 v54, s10, v54
	v_bfe_u32 v55, v51, 1, 1
	v_and_b32_e32 v54, s8, v54
	v_add_co_u32_e64 v55, s[8:9], -1, v55
	v_cndmask_b32_e64 v56, 0, 1, s[8:9]
	v_cmp_ne_u32_e64 s[8:9], 0, v56
	v_xor_b32_e32 v55, s8, v55
	v_and_b32_e32 v54, v54, v55
	v_bfe_u32 v55, v51, 2, 1
	v_add_co_u32_e64 v55, s[8:9], -1, v55
	v_cndmask_b32_e64 v56, 0, 1, s[8:9]
	v_cmp_ne_u32_e64 s[8:9], 0, v56
	v_xor_b32_e32 v55, s8, v55
	v_and_b32_e32 v54, v54, v55
	v_bfe_u32 v55, v51, 3, 1
	;; [unrolled: 6-line block ×5, first 2 shown]
	v_add_co_u32_e64 v55, s[8:9], -1, v55
	v_cndmask_b32_e64 v56, 0, 1, s[8:9]
	v_cmp_ne_u32_e64 s[8:9], 0, v56
	v_xor_b32_e32 v55, s8, v55
	v_bfe_u32 v53, v12, s44, 8
	v_and_b32_e32 v54, v54, v55
	v_bfe_u32 v55, v51, 7, 1
	v_cmp_lt_u32_e64 s[8:9], s14, v53
	v_add_u32_e32 v55, -1, v55
	v_xor_b32_e32 v55, s8, v55
	v_lshlrev_b32_e32 v53, 4, v53
	v_and_b32_e32 v64, v54, v55
	v_or_b32_e32 v54, v27, v53
	s_waitcnt lgkmcnt(0)
	s_barrier
	ds_read_u16 v54, v54 offset:512
	v_ffbl_b32_e32 v55, v64
	v_cmp_ne_u32_e64 s[8:9], 0, v64
	v_cmp_eq_u32_e64 s[10:11], v55, v36
	s_and_b64 s[10:11], s[8:9], s[10:11]
	s_waitcnt lgkmcnt(0)
	s_barrier
	s_and_saveexec_b64 s[8:9], s[10:11]
; %bb.55:
	v_bcnt_u32_b32 v55, v64, v54
	v_add_u32_e32 v53, v27, v53
	ds_write_b16 v53, v55 offset:512
; %bb.56:
	s_or_b64 exec, exec, s[8:9]
	v_cndmask_b32_e64 v56, 0, 1, s[34:35]
	v_cmp_ne_u32_e64 s[8:9], 0, v56
	v_bfe_u32 v56, v13, s44, 1
	v_add_co_u32_e64 v56, s[10:11], -1, v56
	v_cndmask_b32_e64 v57, 0, 1, s[10:11]
	v_lshrrev_b32_e32 v53, s44, v13
	v_cmp_ne_u32_e64 s[10:11], 0, v57
	v_xor_b32_e32 v56, s10, v56
	v_bfe_u32 v57, v53, 1, 1
	v_and_b32_e32 v56, s8, v56
	v_add_co_u32_e64 v57, s[8:9], -1, v57
	v_cndmask_b32_e64 v58, 0, 1, s[8:9]
	v_cmp_ne_u32_e64 s[8:9], 0, v58
	v_xor_b32_e32 v57, s8, v57
	v_and_b32_e32 v56, v56, v57
	v_bfe_u32 v57, v53, 2, 1
	v_add_co_u32_e64 v57, s[8:9], -1, v57
	v_cndmask_b32_e64 v58, 0, 1, s[8:9]
	v_cmp_ne_u32_e64 s[8:9], 0, v58
	v_xor_b32_e32 v57, s8, v57
	v_and_b32_e32 v56, v56, v57
	v_bfe_u32 v57, v53, 3, 1
	;; [unrolled: 6-line block ×5, first 2 shown]
	v_add_co_u32_e64 v57, s[8:9], -1, v57
	v_cndmask_b32_e64 v58, 0, 1, s[8:9]
	v_cmp_ne_u32_e64 s[8:9], 0, v58
	v_xor_b32_e32 v57, s8, v57
	v_bfe_u32 v55, v13, s44, 8
	v_and_b32_e32 v56, v56, v57
	v_bfe_u32 v57, v53, 7, 1
	s_movk_i32 s12, 0x7f
	v_cmp_lt_u32_e64 s[8:9], s12, v55
	v_add_u32_e32 v57, -1, v57
	v_xor_b32_e32 v57, s8, v57
	v_lshlrev_b32_e32 v55, 4, v55
	v_and_b32_e32 v65, v56, v57
	v_or_b32_e32 v56, v27, v55
	s_waitcnt lgkmcnt(0)
	s_barrier
	ds_read_u16 v56, v56 offset:512
	v_ffbl_b32_e32 v57, v65
	v_cmp_ne_u32_e64 s[8:9], 0, v65
	v_cmp_eq_u32_e64 s[10:11], v57, v36
	s_and_b64 s[10:11], s[8:9], s[10:11]
	s_waitcnt lgkmcnt(0)
	s_barrier
	s_and_saveexec_b64 s[8:9], s[10:11]
; %bb.57:
	v_bcnt_u32_b32 v57, v65, v56
	v_add_u32_e32 v55, v27, v55
	ds_write_b16 v55, v57 offset:512
; %bb.58:
	s_or_b64 exec, exec, s[8:9]
	v_cndmask_b32_e64 v58, 0, 1, s[2:3]
	v_cmp_ne_u32_e64 s[2:3], 0, v58
	v_bfe_u32 v58, v14, s44, 1
	v_add_co_u32_e64 v58, s[8:9], -1, v58
	v_cndmask_b32_e64 v59, 0, 1, s[8:9]
	v_lshrrev_b32_e32 v55, s44, v14
	v_cmp_ne_u32_e64 s[8:9], 0, v59
	v_xor_b32_e32 v58, s8, v58
	v_bfe_u32 v59, v55, 1, 1
	v_and_b32_e32 v58, s2, v58
	v_add_co_u32_e64 v59, s[2:3], -1, v59
	v_cndmask_b32_e64 v60, 0, 1, s[2:3]
	v_cmp_ne_u32_e64 s[2:3], 0, v60
	v_xor_b32_e32 v59, s2, v59
	v_and_b32_e32 v58, v58, v59
	v_bfe_u32 v59, v55, 2, 1
	v_add_co_u32_e64 v59, s[2:3], -1, v59
	v_cndmask_b32_e64 v60, 0, 1, s[2:3]
	v_cmp_ne_u32_e64 s[2:3], 0, v60
	v_xor_b32_e32 v59, s2, v59
	v_and_b32_e32 v58, v58, v59
	v_bfe_u32 v59, v55, 3, 1
	;; [unrolled: 6-line block ×5, first 2 shown]
	v_add_co_u32_e64 v59, s[2:3], -1, v59
	v_cndmask_b32_e64 v60, 0, 1, s[2:3]
	v_cmp_ne_u32_e64 s[2:3], 0, v60
	v_xor_b32_e32 v59, s2, v59
	v_bfe_u32 v57, v14, s44, 8
	v_and_b32_e32 v58, v58, v59
	v_bfe_u32 v59, v55, 7, 1
	v_cmp_lt_u32_e64 s[2:3], s12, v57
	v_add_u32_e32 v59, -1, v59
	v_xor_b32_e32 v59, s2, v59
	v_lshlrev_b32_e32 v57, 4, v57
	v_and_b32_e32 v66, v58, v59
	v_or_b32_e32 v58, v27, v57
	s_waitcnt lgkmcnt(0)
	s_barrier
	ds_read_u16 v58, v58 offset:512
	v_ffbl_b32_e32 v59, v66
	v_cmp_ne_u32_e64 s[2:3], 0, v66
	v_cmp_eq_u32_e64 s[8:9], v59, v36
	s_and_b64 s[8:9], s[2:3], s[8:9]
	s_waitcnt lgkmcnt(0)
	s_barrier
	s_and_saveexec_b64 s[2:3], s[8:9]
; %bb.59:
	v_bcnt_u32_b32 v59, v66, v58
	v_add_u32_e32 v57, v27, v57
	ds_write_b16 v57, v59 offset:512
; %bb.60:
	s_or_b64 exec, exec, s[2:3]
	v_cndmask_b32_e64 v60, 0, 1, s[0:1]
	v_cmp_ne_u32_e64 s[0:1], 0, v60
	v_bfe_u32 v60, v15, s44, 1
	v_add_co_u32_e64 v60, s[2:3], -1, v60
	v_cndmask_b32_e64 v61, 0, 1, s[2:3]
	v_lshrrev_b32_e32 v57, s44, v15
	v_cmp_ne_u32_e64 s[2:3], 0, v61
	v_xor_b32_e32 v60, s2, v60
	v_bfe_u32 v61, v57, 1, 1
	v_and_b32_e32 v60, s0, v60
	v_add_co_u32_e64 v61, s[0:1], -1, v61
	v_cndmask_b32_e64 v67, 0, 1, s[0:1]
	v_cmp_ne_u32_e64 s[0:1], 0, v67
	v_xor_b32_e32 v61, s0, v61
	v_and_b32_e32 v60, v60, v61
	v_bfe_u32 v61, v57, 2, 1
	v_add_co_u32_e64 v61, s[0:1], -1, v61
	v_cndmask_b32_e64 v67, 0, 1, s[0:1]
	v_cmp_ne_u32_e64 s[0:1], 0, v67
	v_xor_b32_e32 v61, s0, v61
	v_and_b32_e32 v60, v60, v61
	v_bfe_u32 v61, v57, 3, 1
	;; [unrolled: 6-line block ×5, first 2 shown]
	v_add_co_u32_e64 v61, s[0:1], -1, v61
	v_cndmask_b32_e64 v67, 0, 1, s[0:1]
	v_cmp_ne_u32_e64 s[0:1], 0, v67
	v_xor_b32_e32 v61, s0, v61
	v_bfe_u32 v59, v15, s44, 8
	v_and_b32_e32 v60, v60, v61
	v_bfe_u32 v61, v57, 7, 1
	s_movk_i32 s8, 0x7f
	v_cmp_lt_u32_e64 s[0:1], s8, v59
	v_add_u32_e32 v61, -1, v61
	v_xor_b32_e32 v61, s0, v61
	v_lshlrev_b32_e32 v59, 4, v59
	v_and_b32_e32 v67, v60, v61
	v_or_b32_e32 v60, v27, v59
	s_waitcnt lgkmcnt(0)
	s_barrier
	ds_read_u16 v60, v60 offset:512
	v_ffbl_b32_e32 v61, v67
	v_cmp_ne_u32_e64 s[0:1], 0, v67
	v_cmp_eq_u32_e64 s[2:3], v61, v36
	s_and_b64 s[2:3], s[0:1], s[2:3]
	s_waitcnt lgkmcnt(0)
	s_barrier
	s_and_saveexec_b64 s[0:1], s[2:3]
; %bb.61:
	v_bcnt_u32_b32 v61, v67, v60
	v_add_u32_e32 v59, v27, v59
	ds_write_b16 v59, v61 offset:512
; %bb.62:
	s_or_b64 exec, exec, s[0:1]
	v_cndmask_b32_e64 v69, 0, 1, vcc
	v_cmp_ne_u32_e32 vcc, 0, v69
	v_bfe_u32 v69, v16, s44, 1
	v_add_co_u32_e64 v69, s[0:1], -1, v69
	v_cndmask_b32_e64 v70, 0, 1, s[0:1]
	v_lshrrev_b32_e32 v59, s44, v16
	v_cmp_ne_u32_e64 s[0:1], 0, v70
	v_xor_b32_e32 v69, s0, v69
	v_bfe_u32 v70, v59, 1, 1
	v_and_b32_e32 v69, vcc_lo, v69
	v_add_co_u32_e32 v70, vcc, -1, v70
	v_cndmask_b32_e64 v71, 0, 1, vcc
	v_cmp_ne_u32_e32 vcc, 0, v71
	v_xor_b32_e32 v70, vcc_lo, v70
	v_and_b32_e32 v69, v69, v70
	v_bfe_u32 v70, v59, 2, 1
	v_add_co_u32_e32 v70, vcc, -1, v70
	v_cndmask_b32_e64 v71, 0, 1, vcc
	v_cmp_ne_u32_e32 vcc, 0, v71
	v_xor_b32_e32 v70, vcc_lo, v70
	v_and_b32_e32 v69, v69, v70
	v_bfe_u32 v70, v59, 3, 1
	;; [unrolled: 6-line block ×5, first 2 shown]
	v_add_co_u32_e32 v70, vcc, -1, v70
	v_cndmask_b32_e64 v71, 0, 1, vcc
	v_cmp_ne_u32_e32 vcc, 0, v71
	v_xor_b32_e32 v70, vcc_lo, v70
	v_bfe_u32 v61, v16, s44, 8
	v_and_b32_e32 v69, v69, v70
	v_bfe_u32 v70, v59, 7, 1
	v_cmp_lt_u32_e32 vcc, s8, v61
	v_add_u32_e32 v70, -1, v70
	v_xor_b32_e32 v70, vcc_lo, v70
	v_and_b32_e32 v69, v69, v70
	v_lshlrev_b32_e32 v70, 4, v61
	v_or_b32_e32 v61, v27, v70
	s_waitcnt lgkmcnt(0)
	s_barrier
	ds_read_u16 v61, v61 offset:512
	v_ffbl_b32_e32 v71, v69
	v_cmp_ne_u32_e32 vcc, 0, v69
	v_cmp_eq_u32_e64 s[0:1], v71, v36
	v_lshlrev_b32_e64 v68, v36, -1
	s_and_b64 s[2:3], vcc, s[0:1]
	s_waitcnt lgkmcnt(0)
	s_barrier
	s_and_saveexec_b64 s[0:1], s[2:3]
; %bb.63:
	v_bcnt_u32_b32 v71, v69, v61
	v_add_u32_e32 v70, v27, v70
	ds_write_b16 v70, v71 offset:512
; %bb.64:
	s_or_b64 exec, exec, s[0:1]
	s_movk_i32 s0, 0x100
	v_not_b32_e32 v70, v68
	v_cmp_gt_u32_e32 vcc, s0, v0
	s_waitcnt lgkmcnt(0)
	s_barrier
	s_barrier
	s_and_saveexec_b64 s[0:1], vcc
	s_cbranch_execz .LBB4_66
; %bb.65:
	v_lshlrev_b32_e32 v68, 4, v0
	ds_read2_b32 v[71:72], v68 offset0:130 offset1:131
	ds_read2_b32 v[73:74], v68 offset0:128 offset1:129
	v_mad_i32_i24 v68, v0, -14, v68
	s_waitcnt lgkmcnt(0)
	v_pk_add_u16 v72, v74, v72
	v_pk_add_u16 v71, v73, v71
	v_pk_add_u16 v71, v71, v72
	v_add_u16_sdwa v71, v71, v71 dst_sel:DWORD dst_unused:UNUSED_PAD src0_sel:DWORD src1_sel:WORD_1
	ds_write_b16 v68, v71
.LBB4_66:
	s_or_b64 exec, exec, s[0:1]
	s_load_dwordx4 s[8:11], s[4:5], 0x28
	s_load_dwordx2 s[12:13], s[4:5], 0x38
	s_cmpk_gt_u32 s6, 0x3ff
	v_cmp_eq_u32_e64 s[0:1], 0, v0
	s_cselect_b64 s[2:3], -1, 0
	v_and_b32_e32 v17, v17, v70
	v_and_b32_e32 v18, v18, v70
	;; [unrolled: 1-line block ×16, first 2 shown]
	s_and_b64 s[2:3], s[0:1], s[2:3]
	s_and_saveexec_b64 s[4:5], s[2:3]
	s_cbranch_execz .LBB4_71
; %bb.67:
	v_mov_b32_e32 v62, 0
	s_branch .LBB4_69
.LBB4_68:                               ;   in Loop: Header=BB4_69 Depth=1
	s_or_b64 exec, exec, s[14:15]
	s_waitcnt vmcnt(0)
	v_readfirstlane_b32 s2, v63
	s_andn2_b32 s2, s2, 31
	s_addk_i32 s2, 0x3c0
	s_cmp_le_u32 s2, s6
	s_cbranch_scc0 .LBB4_71
.LBB4_69:                               ; =>This Inner Loop Header: Depth=1
	v_mbcnt_lo_u32_b32 v63, exec_lo, 0
	v_mbcnt_hi_u32_b32 v63, exec_hi, v63
	v_cmp_eq_u32_e64 s[2:3], 0, v63
                                        ; implicit-def: $vgpr63
	s_and_saveexec_b64 s[14:15], s[2:3]
	s_cbranch_execz .LBB4_68
; %bb.70:                               ;   in Loop: Header=BB4_69 Depth=1
	s_waitcnt lgkmcnt(0)
	global_load_dword v63, v62, s[12:13] glc
	s_branch .LBB4_68
.LBB4_71:
	s_or_b64 exec, exec, s[4:5]
	v_bcnt_u32_b32 v70, v17, 0
	v_bcnt_u32_b32 v71, v18, 0
	;; [unrolled: 1-line block ×16, first 2 shown]
	s_waitcnt lgkmcnt(0)
	s_barrier
	s_and_saveexec_b64 s[14:15], vcc
	s_cbranch_execz .LBB4_79
; %bb.72:
	s_lshl_b32 s2, s6, 8
	s_and_b32 s2, s2, 0x3ff00
	ds_read_u16 v17, v26
	s_and_b32 s18, s6, 0x3fffffff
	v_or_b32_e32 v19, s2, v0
	s_or_b32 s3, s18, 2.0
	v_lshlrev_b32_e32 v20, 3, v19
	v_mov_b32_e32 v18, s3
	v_mov_b32_e32 v21, s11
	v_add_co_u32_e64 v20, s[2:3], s10, v20
	v_addc_co_u32_e64 v21, s[2:3], 0, v21, s[2:3]
	v_mov_b32_e32 v19, 0
	s_waitcnt lgkmcnt(0)
	flat_store_dwordx2 v[20:21], v[17:18]
	s_waitcnt vmcnt(0)
	v_lshl_or_b32 v18, s45, 8, v0
	v_lshlrev_b64 v[22:23], 2, v[18:19]
	v_mov_b32_e32 v18, s9
	v_add_co_u32_e64 v22, s[2:3], s8, v22
	v_addc_co_u32_e64 v23, s[2:3], v18, v23, s[2:3]
	global_load_dword v18, v[22:23], off
	s_mov_b64 s[8:9], 0
	s_mov_b32 s19, s6
                                        ; implicit-def: $sgpr2_sgpr3
	s_branch .LBB4_74
.LBB4_73:                               ;   in Loop: Header=BB4_74 Depth=1
                                        ; implicit-def: $sgpr19
	s_and_b64 s[4:5], exec, s[2:3]
	s_or_b64 s[8:9], s[4:5], s[8:9]
	s_andn2_b64 exec, exec, s[8:9]
	s_cbranch_execz .LBB4_78
.LBB4_74:                               ; =>This Loop Header: Depth=1
                                        ;     Child Loop BB4_76 Depth 2
	s_or_b64 s[2:3], s[2:3], exec
	s_cmp_lt_i32 s19, 1
	s_cbranch_scc1 .LBB4_73
; %bb.75:                               ;   in Loop: Header=BB4_74 Depth=1
	s_add_i32 s19, s19, -1
	s_lshl_b32 s2, s19, 8
	s_and_b32 s2, s2, 0x3ff00
	v_or_b32_e32 v22, s2, v0
	s_sub_i32 s2, s6, s19
	v_lshlrev_b32_e32 v22, 3, v22
	s_cmp_eq_u32 s2, 64
	v_mov_b32_e32 v23, s11
	v_add_co_u32_e64 v22, s[2:3], s10, v22
	s_cselect_b32 s20, 2, 3
	v_addc_co_u32_e64 v23, s[2:3], 0, v23, s[2:3]
	s_mov_b64 s[16:17], 0
.LBB4_76:                               ;   Parent Loop BB4_74 Depth=1
                                        ; =>  This Inner Loop Header: Depth=2
	flat_load_dwordx2 v[24:25], v[22:23] glc
	s_waitcnt vmcnt(0) lgkmcnt(0)
	v_lshrrev_b32_e32 v78, 30, v25
	v_and_b32_e32 v25, 0x3fffffff, v25
	v_and_b32_e32 v79, s20, v78
	v_cmp_ne_u32_e64 s[2:3], 0, v79
	v_cmp_eq_u32_e64 s[4:5], s19, v25
	s_and_b64 s[2:3], s[2:3], s[4:5]
	s_and_b64 s[2:3], exec, s[2:3]
	s_or_b64 s[16:17], s[2:3], s[16:17]
	s_andn2_b64 exec, exec, s[16:17]
	s_cbranch_execnz .LBB4_76
; %bb.77:                               ;   in Loop: Header=BB4_74 Depth=1
	s_or_b64 exec, exec, s[16:17]
	v_add_u32_e32 v19, v19, v24
	v_cmp_eq_u32_e64 s[2:3], 2, v78
	s_and_b64 s[4:5], exec, s[2:3]
	s_or_b64 s[8:9], s[4:5], s[8:9]
	s_andn2_b64 exec, exec, s[8:9]
	s_cbranch_execnz .LBB4_74
.LBB4_78:
	s_or_b64 exec, exec, s[8:9]
	s_bitset1_b32 s18, 31
	v_add_u32_e32 v22, v19, v17
	v_mov_b32_e32 v23, s18
	s_waitcnt vmcnt(0)
	v_add_u32_e32 v17, v19, v18
	v_lshlrev_b32_e32 v18, 2, v0
	flat_store_dwordx2 v[20:21], v[22:23]
	s_waitcnt vmcnt(0)
	ds_write_b32 v18, v17 offset:20480
.LBB4_79:
	s_or_b64 exec, exec, s[14:15]
; %bb.80:
	s_waitcnt lgkmcnt(0)
	s_barrier
	s_and_saveexec_b64 s[2:3], s[0:1]
	s_cbranch_execz .LBB4_86
; %bb.81:
	v_mov_b32_e32 v17, 0
	s_branch .LBB4_83
.LBB4_82:                               ;   in Loop: Header=BB4_83 Depth=1
	s_or_b64 exec, exec, s[4:5]
	s_waitcnt vmcnt(0)
	v_readfirstlane_b32 s0, v18
	s_xor_b32 s0, s0, s6
	s_cmp_gt_u32 s0, 31
	s_cbranch_scc0 .LBB4_85
.LBB4_83:                               ; =>This Inner Loop Header: Depth=1
	v_mbcnt_lo_u32_b32 v18, exec_lo, 0
	v_mbcnt_hi_u32_b32 v18, exec_hi, v18
	v_cmp_eq_u32_e64 s[0:1], 0, v18
                                        ; implicit-def: $vgpr18
	s_and_saveexec_b64 s[4:5], s[0:1]
	s_cbranch_execz .LBB4_82
; %bb.84:                               ;   in Loop: Header=BB4_83 Depth=1
	global_load_dword v18, v17, s[12:13] glc
	s_branch .LBB4_82
.LBB4_85:
	s_add_i32 s0, s7, 0xfff
	s_lshr_b32 s0, s0, 12
	s_add_i32 s0, s0, -1
	v_mov_b32_e32 v17, 0
	v_mov_b32_e32 v18, s0
	global_atomic_inc v17, v18, s[12:13]
.LBB4_86:
	s_or_b64 exec, exec, s[2:3]
	s_movk_i32 s0, 0x100
	v_cmp_gt_u32_e64 s[0:1], s0, v0
	v_mov_b32_e32 v17, 0
	s_waitcnt vmcnt(0)
	s_barrier
	s_and_saveexec_b64 s[2:3], s[0:1]
; %bb.87:
	ds_read_u16 v17, v26
; %bb.88:
	s_or_b64 exec, exec, s[2:3]
	s_movk_i32 s2, 0xff00
	v_or_b32_e32 v19, 0xffffff00, v0
	v_cmp_lt_u32_e64 s[2:3], s2, v19
	s_waitcnt lgkmcnt(0)
	v_mov_b32_e32 v18, v17
	s_and_saveexec_b64 s[4:5], s[2:3]
	s_cbranch_execz .LBB4_90
; %bb.89:
	v_add_u32_e32 v18, -2, v26
	ds_read_u16 v18, v18
	s_waitcnt lgkmcnt(0)
	v_add_u16_e32 v18, v18, v17
.LBB4_90:
	s_or_b64 exec, exec, s[4:5]
	s_barrier
	s_and_saveexec_b64 s[2:3], s[0:1]
; %bb.91:
	ds_write_b16 v26, v18
; %bb.92:
	s_or_b64 exec, exec, s[2:3]
	s_movk_i32 s2, 0xff01
	v_cmp_lt_u32_e64 s[2:3], s2, v19
	s_waitcnt lgkmcnt(0)
	s_barrier
	s_and_saveexec_b64 s[4:5], s[2:3]
	s_cbranch_execz .LBB4_94
; %bb.93:
	v_add_u32_e32 v20, -4, v26
	ds_read_u16 v20, v20
	s_waitcnt lgkmcnt(0)
	v_add_u16_e32 v18, v20, v18
.LBB4_94:
	s_or_b64 exec, exec, s[4:5]
	s_barrier
	s_and_saveexec_b64 s[2:3], s[0:1]
; %bb.95:
	ds_write_b16 v26, v18
; %bb.96:
	s_or_b64 exec, exec, s[2:3]
	s_movk_i32 s2, 0xff03
	v_cmp_lt_u32_e64 s[2:3], s2, v19
	s_waitcnt lgkmcnt(0)
	s_barrier
	;; [unrolled: 19-line block ×4, first 2 shown]
	s_and_saveexec_b64 s[4:5], s[2:3]
	s_cbranch_execz .LBB4_106
; %bb.105:
	v_subrev_u32_e32 v20, 32, v26
	ds_read_u16 v20, v20
	s_waitcnt lgkmcnt(0)
	v_add_u16_e32 v18, v20, v18
.LBB4_106:
	s_or_b64 exec, exec, s[4:5]
	s_barrier
	s_and_saveexec_b64 s[2:3], s[0:1]
; %bb.107:
	ds_write_b16 v26, v18
; %bb.108:
	s_or_b64 exec, exec, s[2:3]
	s_movk_i32 s2, 0xff1f
	v_cmp_lt_u32_e64 s[2:3], s2, v19
	s_waitcnt lgkmcnt(0)
	s_barrier
	s_and_saveexec_b64 s[4:5], s[2:3]
	s_cbranch_execz .LBB4_110
; %bb.109:
	v_subrev_u32_e32 v20, 64, v26
	ds_read_u16 v20, v20
	s_waitcnt lgkmcnt(0)
	v_add_u16_e32 v18, v20, v18
.LBB4_110:
	s_or_b64 exec, exec, s[4:5]
	s_barrier
	s_and_saveexec_b64 s[2:3], s[0:1]
; %bb.111:
	ds_write_b16 v26, v18
; %bb.112:
	s_or_b64 exec, exec, s[2:3]
	s_movk_i32 s2, 0xff3f
	v_cmp_lt_u32_e64 s[2:3], s2, v19
	s_waitcnt lgkmcnt(0)
	s_barrier
	s_and_saveexec_b64 s[4:5], s[2:3]
	s_cbranch_execz .LBB4_114
; %bb.113:
	v_add_u32_e32 v19, 0xffffff80, v26
	ds_read_u16 v19, v19
	s_waitcnt lgkmcnt(0)
	v_add_u16_e32 v18, v19, v18
.LBB4_114:
	s_or_b64 exec, exec, s[4:5]
	s_barrier
	s_and_saveexec_b64 s[2:3], s[0:1]
; %bb.115:
	ds_write_b16 v26, v18
; %bb.116:
	s_or_b64 exec, exec, s[2:3]
	v_and_b32_e32 v19, 0x80, v0
	v_cmp_ne_u32_e64 s[2:3], 0, v19
	s_waitcnt lgkmcnt(0)
	s_barrier
	s_and_saveexec_b64 s[4:5], s[2:3]
	s_cbranch_execz .LBB4_118
; %bb.117:
	v_add_u32_e32 v19, 0xffffff00, v26
	ds_read_u16 v19, v19
	s_waitcnt lgkmcnt(0)
	v_add_u16_e32 v18, v19, v18
.LBB4_118:
	s_or_b64 exec, exec, s[4:5]
	s_barrier
	s_and_saveexec_b64 s[2:3], s[0:1]
; %bb.119:
	ds_write_b16 v26, v18
; %bb.120:
	s_or_b64 exec, exec, s[2:3]
	s_waitcnt lgkmcnt(0)
	s_barrier
	s_barrier
	s_and_saveexec_b64 s[2:3], s[0:1]
; %bb.121:
	v_sub_u16_e32 v17, v18, v17
	ds_write_b16 v26, v17
; %bb.122:
	s_or_b64 exec, exec, s[2:3]
	v_lshlrev_b32_e32 v78, 2, v0
	s_waitcnt lgkmcnt(0)
	s_barrier
	s_and_saveexec_b64 s[0:1], vcc
	s_cbranch_execz .LBB4_124
; %bb.123:
	v_lshlrev_b32_e32 v19, 2, v0
	ds_read_u16 v20, v26
	ds_read_b32 v21, v19 offset:20480
	v_mad_u32_u24 v22, v0, 14, v26
	ds_read2_b32 v[17:18], v22 offset0:128 offset1:129
	ds_read_b32 v23, v22 offset:520
	ds_read_u16 v24, v22 offset:524
	s_mov_b32 s2, 0x5040100
	s_waitcnt lgkmcnt(3)
	v_sub_u32_sdwa v21, v21, v20 dst_sel:DWORD dst_unused:UNUSED_PAD src0_sel:DWORD src1_sel:WORD_0
	ds_write_b32 v19, v21 offset:20480
	ds_write_b16 v22, v20 offset:512
	s_waitcnt lgkmcnt(4)
	v_add_u32_sdwa v20, v17, v20 dst_sel:DWORD dst_unused:UNUSED_PAD src0_sel:WORD_0 src1_sel:WORD_0
	v_add_u32_sdwa v17, v20, v17 dst_sel:DWORD dst_unused:UNUSED_PAD src0_sel:DWORD src1_sel:WORD_1
	v_add_u32_sdwa v19, v17, v18 dst_sel:DWORD dst_unused:UNUSED_PAD src0_sel:DWORD src1_sel:WORD_0
	v_add_u32_sdwa v18, v19, v18 dst_sel:DWORD dst_unused:UNUSED_PAD src0_sel:DWORD src1_sel:WORD_1
	s_waitcnt lgkmcnt(3)
	v_add_u16_e32 v21, v23, v18
	v_add_u16_sdwa v23, v23, v21 dst_sel:DWORD dst_unused:UNUSED_PAD src0_sel:WORD_1 src1_sel:DWORD
	v_perm_b32 v18, v18, v19, s2
	v_perm_b32 v19, v23, v21, s2
	;; [unrolled: 1-line block ×3, first 2 shown]
	ds_write_b96 v22, v[17:19] offset:514
	s_waitcnt lgkmcnt(3)
	v_add_u16_e32 v17, v24, v23
	ds_write_b16 v22, v17 offset:526
.LBB4_124:
	s_or_b64 exec, exec, s[0:1]
	v_and_b32_e32 v19, 0xffff, v33
	v_and_b32_e32 v18, 0xffff, v31
	;; [unrolled: 1-line block ×3, first 2 shown]
	v_lshlrev_b32_e32 v28, 4, v28
	s_movk_i32 s0, 0xff0
	v_lshlrev_b32_e32 v29, 4, v30
	v_lshlrev_b32_e32 v30, 4, v32
	;; [unrolled: 1-line block ×7, first 2 shown]
	v_and_or_b32 v28, v28, s0, v27
	v_and_or_b32 v29, v29, s0, v27
	;; [unrolled: 1-line block ×8, first 2 shown]
	s_waitcnt lgkmcnt(0)
	s_barrier
	ds_read_u16 v28, v28 offset:512
	ds_read_u16 v29, v29 offset:512
	;; [unrolled: 1-line block ×8, first 2 shown]
	v_and_b32_e32 v23, 0xffff, v44
	v_and_b32_e32 v22, 0xffff, v42
	;; [unrolled: 1-line block ×5, first 2 shown]
	s_waitcnt lgkmcnt(7)
	v_add3_u32 v17, v70, v17, v28
	s_waitcnt lgkmcnt(6)
	v_add3_u32 v18, v71, v18, v29
	s_waitcnt lgkmcnt(5)
	v_add3_u32 v19, v72, v19, v30
	s_waitcnt lgkmcnt(4)
	v_add3_u32 v20, v73, v20, v31
	s_waitcnt lgkmcnt(3)
	v_add3_u32 v21, v74, v21, v32
	s_waitcnt lgkmcnt(2)
	v_add3_u32 v22, v75, v22, v33
	s_waitcnt lgkmcnt(1)
	v_add3_u32 v23, v76, v23, v34
	v_lshlrev_b32_e32 v28, 4, v45
	v_lshlrev_b32_e32 v29, 4, v47
	;; [unrolled: 1-line block ×7, first 2 shown]
	s_waitcnt lgkmcnt(0)
	v_add3_u32 v24, v77, v24, v37
	v_and_or_b32 v28, v28, s0, v27
	v_and_or_b32 v29, v29, s0, v27
	v_and_or_b32 v30, v30, s0, v27
	v_and_or_b32 v31, v31, s0, v27
	v_and_or_b32 v32, v32, s0, v27
	v_and_or_b32 v33, v33, s0, v27
	v_and_or_b32 v34, v34, s0, v27
	v_lshlrev_b32_e32 v37, 4, v59
	v_and_or_b32 v27, v37, s0, v27
	ds_read_u16 v28, v28 offset:512
	ds_read_u16 v29, v29 offset:512
	;; [unrolled: 1-line block ×8, first 2 shown]
	v_and_b32_e32 v61, 0xffff, v61
	v_and_b32_e32 v60, 0xffff, v60
	;; [unrolled: 1-line block ×8, first 2 shown]
	s_waitcnt lgkmcnt(7)
	v_add3_u32 v25, v62, v25, v28
	s_waitcnt lgkmcnt(6)
	v_add3_u32 v26, v63, v26, v29
	s_waitcnt lgkmcnt(5)
	v_add3_u32 v27, v64, v52, v30
	s_waitcnt lgkmcnt(4)
	v_add3_u32 v28, v65, v54, v31
	s_waitcnt lgkmcnt(3)
	v_add3_u32 v29, v66, v56, v32
	s_waitcnt lgkmcnt(2)
	v_add3_u32 v30, v67, v58, v33
	s_waitcnt lgkmcnt(1)
	v_add3_u32 v31, v68, v60, v34
	s_waitcnt lgkmcnt(0)
	v_add3_u32 v32, v69, v61, v37
	s_mov_b64 s[0:1], 0
	s_movk_i32 s6, 0x1df
	s_mov_b64 s[2:3], 0
	v_mov_b32_e32 v33, v36
	s_barrier
	s_branch .LBB4_126
.LBB4_125:                              ;   in Loop: Header=BB4_126 Depth=1
	s_or_b64 exec, exec, s[4:5]
	s_add_u32 s2, s2, 1
	v_add_u32_e32 v34, 32, v33
	s_addc_u32 s3, s3, 0
	v_cmp_lt_u32_e32 vcc, s6, v33
	s_or_b64 s[0:1], vcc, s[0:1]
	v_mov_b32_e32 v33, v34
	s_andn2_b64 exec, exec, s[0:1]
	s_cbranch_execz .LBB4_128
.LBB4_126:                              ; =>This Inner Loop Header: Depth=1
	v_add_u32_e32 v34, v35, v33
	v_cmp_gt_u32_e32 vcc, s7, v34
	s_and_saveexec_b64 s[4:5], vcc
	s_cbranch_execz .LBB4_125
; %bb.127:                              ;   in Loop: Header=BB4_126 Depth=1
	s_set_gpr_idx_on s2, gpr_idx(SRC0)
	v_mov_b32_e32 v34, v17
	s_set_gpr_idx_off
	v_lshlrev_b32_e32 v34, 2, v34
	s_set_gpr_idx_on s2, gpr_idx(SRC0)
	v_mov_b32_e32 v37, v1
	s_set_gpr_idx_off
	ds_write_b32 v34, v37
	s_branch .LBB4_125
.LBB4_128:
	s_or_b64 exec, exec, s[0:1]
	s_mov_b64 s[0:1], 0
	v_mov_b32_e32 v34, 0
	s_movk_i32 s4, 0xeff
	v_mov_b32_e32 v37, v78
	v_mov_b32_e32 v38, v0
	s_waitcnt lgkmcnt(0)
	s_barrier
	s_branch .LBB4_130
.LBB4_129:                              ;   in Loop: Header=BB4_130 Depth=1
	s_or_b64 exec, exec, s[2:3]
	v_add_u32_e32 v33, 0x100, v38
	v_cmp_lt_u32_e32 vcc, s4, v38
	v_add_u32_e32 v37, 0x400, v37
	s_or_b64 s[0:1], vcc, s[0:1]
	v_mov_b32_e32 v38, v33
	s_andn2_b64 exec, exec, s[0:1]
	s_cbranch_execz .LBB4_132
.LBB4_130:                              ; =>This Inner Loop Header: Depth=1
	v_add_u32_e32 v33, s33, v38
	v_cmp_gt_u32_e32 vcc, s7, v33
	s_and_saveexec_b64 s[2:3], vcc
	s_cbranch_execz .LBB4_129
; %bb.131:                              ;   in Loop: Header=BB4_130 Depth=1
	ds_read_b32 v41, v37
	v_mov_b32_e32 v42, s39
	s_waitcnt lgkmcnt(0)
	v_bfe_u32 v33, v41, s44, 8
	v_lshlrev_b32_e32 v33, 2, v33
	ds_read_b32 v33, v33 offset:20480
	s_waitcnt lgkmcnt(0)
	v_add_u32_e32 v33, v38, v33
	v_lshlrev_b64 v[39:40], 2, v[33:34]
	v_add_co_u32_e32 v39, vcc, s38, v39
	v_addc_co_u32_e32 v40, vcc, v42, v40, vcc
	global_store_dword v[39:40], v41, off
	s_branch .LBB4_129
.LBB4_132:
	s_or_b64 exec, exec, s[0:1]
	s_mov_b64 s[0:1], 0
	v_mov_b32_e32 v34, 0
	s_movk_i32 s6, 0x1df
	s_mov_b64 s[2:3], 0
	s_waitcnt vmcnt(0)
	s_barrier
	s_branch .LBB4_134
.LBB4_133:                              ;   in Loop: Header=BB4_134 Depth=1
	s_or_b64 exec, exec, s[4:5]
	s_add_u32 s2, s2, 1
	v_add_u32_e32 v33, 32, v36
	s_addc_u32 s3, s3, 0
	v_cmp_lt_u32_e32 vcc, s6, v36
	s_or_b64 s[0:1], vcc, s[0:1]
	v_mov_b32_e32 v36, v33
	s_andn2_b64 exec, exec, s[0:1]
	s_cbranch_execz .LBB4_136
.LBB4_134:                              ; =>This Inner Loop Header: Depth=1
	v_add_u32_e32 v33, v35, v36
	v_cmp_gt_u32_e32 vcc, s7, v33
	s_and_saveexec_b64 s[4:5], vcc
	s_cbranch_execz .LBB4_133
; %bb.135:                              ;   in Loop: Header=BB4_134 Depth=1
	v_lshlrev_b64 v[37:38], 2, v[33:34]
	v_mov_b32_e32 v33, s41
	v_add_co_u32_e32 v37, vcc, s40, v37
	v_addc_co_u32_e32 v38, vcc, v33, v38, vcc
	s_set_gpr_idx_on s2, gpr_idx(SRC0)
	v_mov_b32_e32 v39, v1
	s_set_gpr_idx_off
	global_load_dword v33, v[37:38], off
	v_lshrrev_b32_e32 v37, s44, v39
	s_set_gpr_idx_on s2, gpr_idx(SRC0)
	v_mov_b32_e32 v38, v17
	s_set_gpr_idx_off
	v_lshlrev_b32_e32 v39, 2, v38
	s_waitcnt vmcnt(0)
	ds_write_b32 v39, v33
	ds_write_b8 v38, v37 offset:16384
	s_branch .LBB4_133
.LBB4_136:
	s_or_b64 exec, exec, s[0:1]
	s_mov_b64 s[0:1], 0
	v_mov_b32_e32 v2, 0
	s_movk_i32 s4, 0xeff
	s_waitcnt lgkmcnt(0)
	s_barrier
	s_branch .LBB4_138
.LBB4_137:                              ;   in Loop: Header=BB4_138 Depth=1
	s_or_b64 exec, exec, s[2:3]
	v_add_u32_e32 v1, 0x100, v0
	v_cmp_lt_u32_e32 vcc, s4, v0
	v_add_u32_e32 v78, 0x400, v78
	s_or_b64 s[0:1], vcc, s[0:1]
	v_mov_b32_e32 v0, v1
	s_andn2_b64 exec, exec, s[0:1]
	s_cbranch_execz .LBB4_140
.LBB4_138:                              ; =>This Inner Loop Header: Depth=1
	v_add_u32_e32 v1, s33, v0
	v_cmp_gt_u32_e32 vcc, s7, v1
	s_and_saveexec_b64 s[2:3], vcc
	s_cbranch_execz .LBB4_137
; %bb.139:                              ;   in Loop: Header=BB4_138 Depth=1
	ds_read_u8 v1, v0 offset:16384
	v_mov_b32_e32 v6, s43
	s_waitcnt lgkmcnt(0)
	v_lshlrev_b32_e32 v1, 2, v1
	ds_read_b32 v1, v1 offset:20480
	ds_read_b32 v5, v78
	s_waitcnt lgkmcnt(1)
	v_add_u32_e32 v1, v0, v1
	v_lshlrev_b64 v[3:4], 2, v[1:2]
	v_add_co_u32_e32 v3, vcc, s42, v3
	v_addc_co_u32_e32 v4, vcc, v6, v4, vcc
	s_waitcnt lgkmcnt(0)
	global_store_dword v[3:4], v5, off
	s_branch .LBB4_137
.LBB4_140:
	s_endpgm
	.section	.rodata,"a",@progbits
	.p2align	6, 0x0
	.amdhsa_kernel OnesweepReorderKeyPair64
		.amdhsa_group_segment_fixed_size 21504
		.amdhsa_private_segment_fixed_size 0
		.amdhsa_kernarg_size 72
		.amdhsa_user_sgpr_count 6
		.amdhsa_user_sgpr_private_segment_buffer 1
		.amdhsa_user_sgpr_dispatch_ptr 0
		.amdhsa_user_sgpr_queue_ptr 0
		.amdhsa_user_sgpr_kernarg_segment_ptr 1
		.amdhsa_user_sgpr_dispatch_id 0
		.amdhsa_user_sgpr_flat_scratch_init 0
		.amdhsa_user_sgpr_private_segment_size 0
		.amdhsa_uses_dynamic_stack 0
		.amdhsa_system_sgpr_private_segment_wavefront_offset 0
		.amdhsa_system_sgpr_workgroup_id_x 1
		.amdhsa_system_sgpr_workgroup_id_y 0
		.amdhsa_system_sgpr_workgroup_id_z 0
		.amdhsa_system_sgpr_workgroup_info 0
		.amdhsa_system_vgpr_workitem_id 0
		.amdhsa_next_free_vgpr 83
		.amdhsa_next_free_sgpr 98
		.amdhsa_reserve_vcc 1
		.amdhsa_reserve_flat_scratch 0
		.amdhsa_float_round_mode_32 0
		.amdhsa_float_round_mode_16_64 0
		.amdhsa_float_denorm_mode_32 3
		.amdhsa_float_denorm_mode_16_64 3
		.amdhsa_dx10_clamp 1
		.amdhsa_ieee_mode 1
		.amdhsa_fp16_overflow 0
		.amdhsa_exception_fp_ieee_invalid_op 0
		.amdhsa_exception_fp_denorm_src 0
		.amdhsa_exception_fp_ieee_div_zero 0
		.amdhsa_exception_fp_ieee_overflow 0
		.amdhsa_exception_fp_ieee_underflow 0
		.amdhsa_exception_fp_ieee_inexact 0
		.amdhsa_exception_int_div_zero 0
	.end_amdhsa_kernel
	.text
.Lfunc_end4:
	.size	OnesweepReorderKeyPair64, .Lfunc_end4-OnesweepReorderKeyPair64
                                        ; -- End function
	.set OnesweepReorderKeyPair64.num_vgpr, 83
	.set OnesweepReorderKeyPair64.num_agpr, 0
	.set OnesweepReorderKeyPair64.numbered_sgpr, 47
	.set OnesweepReorderKeyPair64.num_named_barrier, 0
	.set OnesweepReorderKeyPair64.private_seg_size, 0
	.set OnesweepReorderKeyPair64.uses_vcc, 1
	.set OnesweepReorderKeyPair64.uses_flat_scratch, 0
	.set OnesweepReorderKeyPair64.has_dyn_sized_stack, 0
	.set OnesweepReorderKeyPair64.has_recursion, 0
	.set OnesweepReorderKeyPair64.has_indirect_call, 0
	.section	.AMDGPU.csdata,"",@progbits
; Kernel info:
; codeLenInByte = 11072
; TotalNumSgprs: 51
; NumVgprs: 83
; ScratchSize: 0
; MemoryBound: 0
; FloatMode: 240
; IeeeMode: 1
; LDSByteSize: 21504 bytes/workgroup (compile time only)
; SGPRBlocks: 12
; VGPRBlocks: 20
; NumSGPRsForWavesPerEU: 102
; NumVGPRsForWavesPerEU: 83
; Occupancy: 3
; WaveLimiterHint : 0
; COMPUTE_PGM_RSRC2:SCRATCH_EN: 0
; COMPUTE_PGM_RSRC2:USER_SGPR: 6
; COMPUTE_PGM_RSRC2:TRAP_HANDLER: 0
; COMPUTE_PGM_RSRC2:TGID_X_EN: 1
; COMPUTE_PGM_RSRC2:TGID_Y_EN: 0
; COMPUTE_PGM_RSRC2:TGID_Z_EN: 0
; COMPUTE_PGM_RSRC2:TIDIG_COMP_CNT: 0
	.section	.AMDGPU.gpr_maximums,"",@progbits
	.set amdgpu.max_num_vgpr, 0
	.set amdgpu.max_num_agpr, 0
	.set amdgpu.max_num_sgpr, 0
	.section	.AMDGPU.csdata,"",@progbits
	.type	__hip_cuid_9b06d5aaf119223,@object ; @__hip_cuid_9b06d5aaf119223
	.section	.bss,"aw",@nobits
	.globl	__hip_cuid_9b06d5aaf119223
__hip_cuid_9b06d5aaf119223:
	.byte	0                               ; 0x0
	.size	__hip_cuid_9b06d5aaf119223, 1

	.ident	"AMD clang version 22.0.0git (https://github.com/RadeonOpenCompute/llvm-project roc-7.2.4 26084 f58b06dce1f9c15707c5f808fd002e18c2accf7e)"
	.section	".note.GNU-stack","",@progbits
	.addrsig
	.addrsig_sym __hip_cuid_9b06d5aaf119223
	.amdgpu_metadata
---
amdhsa.kernels:
  - .args:
      - .address_space:  global
        .offset:         0
        .size:           8
        .value_kind:     global_buffer
      - .address_space:  global
        .offset:         8
        .size:           8
        .value_kind:     global_buffer
      - .offset:         16
        .size:           4
        .value_kind:     by_value
      - .offset:         20
        .size:           4
        .value_kind:     by_value
      - .offset:         24
        .size:           4
        .value_kind:     by_value
    .group_segment_fixed_size: 17456
    .kernarg_segment_align: 8
    .kernarg_segment_size: 28
    .language:       OpenCL C
    .language_version:
      - 2
      - 0
    .max_flat_workgroup_size: 1024
    .name:           SortSinglePassKernel
    .private_segment_fixed_size: 284
    .sgpr_count:     84
    .sgpr_spill_count: 0
    .symbol:         SortSinglePassKernel.kd
    .uniform_work_group_size: 1
    .uses_dynamic_stack: false
    .vgpr_count:     64
    .vgpr_spill_count: 127
    .wavefront_size: 64
  - .args:
      - .address_space:  global
        .offset:         0
        .size:           8
        .value_kind:     global_buffer
      - .address_space:  global
        .offset:         8
        .size:           8
        .value_kind:     global_buffer
      - .address_space:  global
        .offset:         16
        .size:           8
        .value_kind:     global_buffer
      - .address_space:  global
        .offset:         24
        .size:           8
        .value_kind:     global_buffer
      - .offset:         32
        .size:           4
        .value_kind:     by_value
      - .offset:         36
        .size:           4
        .value_kind:     by_value
      - .offset:         40
        .size:           4
        .value_kind:     by_value
    .group_segment_fixed_size: 29744
    .kernarg_segment_align: 8
    .kernarg_segment_size: 44
    .language:       OpenCL C
    .language_version:
      - 2
      - 0
    .max_flat_workgroup_size: 1024
    .name:           SortSinglePassKVKernel
    .private_segment_fixed_size: 448
    .sgpr_count:     84
    .sgpr_spill_count: 0
    .symbol:         SortSinglePassKVKernel.kd
    .uniform_work_group_size: 1
    .uses_dynamic_stack: false
    .vgpr_count:     64
    .vgpr_spill_count: 199
    .wavefront_size: 64
  - .args:
      - .address_space:  global
        .offset:         0
        .size:           8
        .value_kind:     global_buffer
      - .offset:         8
        .size:           4
        .value_kind:     by_value
      - .address_space:  global
        .offset:         16
        .size:           8
        .value_kind:     global_buffer
      - .offset:         24
        .size:           4
        .value_kind:     by_value
      - .address_space:  global
        .offset:         32
        .size:           8
        .value_kind:     global_buffer
    .group_segment_fixed_size: 4100
    .kernarg_segment_align: 8
    .kernarg_segment_size: 40
    .language:       OpenCL C
    .language_version:
      - 2
      - 0
    .max_flat_workgroup_size: 1024
    .name:           GHistogram
    .private_segment_fixed_size: 0
    .sgpr_count:     26
    .sgpr_spill_count: 0
    .symbol:         GHistogram.kd
    .uniform_work_group_size: 1
    .uses_dynamic_stack: false
    .vgpr_count:     10
    .vgpr_spill_count: 0
    .wavefront_size: 64
  - .args:
      - .address_space:  global
        .offset:         0
        .size:           8
        .value_kind:     global_buffer
      - .address_space:  global
        .offset:         8
        .size:           8
        .value_kind:     global_buffer
      - .offset:         16
        .size:           4
        .value_kind:     by_value
      - .address_space:  global
        .offset:         24
        .size:           8
        .value_kind:     global_buffer
      - .address_space:  global
        .offset:         32
        .size:           8
        .value_kind:     global_buffer
      - .address_space:  global
        .offset:         40
        .size:           8
        .value_kind:     global_buffer
      - .offset:         48
        .size:           4
        .value_kind:     by_value
      - .offset:         52
        .size:           4
        .value_kind:     by_value
    .group_segment_fixed_size: 21504
    .kernarg_segment_align: 8
    .kernarg_segment_size: 56
    .language:       OpenCL C
    .language_version:
      - 2
      - 0
    .max_flat_workgroup_size: 256
    .name:           OnesweepReorderKey64
    .private_segment_fixed_size: 0
    .sgpr_count:     47
    .sgpr_spill_count: 0
    .symbol:         OnesweepReorderKey64.kd
    .uniform_work_group_size: 1
    .uses_dynamic_stack: false
    .vgpr_count:     83
    .vgpr_spill_count: 0
    .wavefront_size: 64
  - .args:
      - .address_space:  global
        .offset:         0
        .size:           8
        .value_kind:     global_buffer
      - .address_space:  global
        .offset:         8
        .size:           8
        .value_kind:     global_buffer
      - .address_space:  global
        .offset:         16
        .size:           8
        .value_kind:     global_buffer
      - .address_space:  global
        .offset:         24
        .size:           8
        .value_kind:     global_buffer
      - .offset:         32
        .size:           4
        .value_kind:     by_value
      - .address_space:  global
        .offset:         40
        .size:           8
        .value_kind:     global_buffer
      - .address_space:  global
        .offset:         48
        .size:           8
        .value_kind:     global_buffer
      - .address_space:  global
        .offset:         56
        .size:           8
        .value_kind:     global_buffer
      - .offset:         64
        .size:           4
        .value_kind:     by_value
      - .offset:         68
        .size:           4
        .value_kind:     by_value
    .group_segment_fixed_size: 21504
    .kernarg_segment_align: 8
    .kernarg_segment_size: 72
    .language:       OpenCL C
    .language_version:
      - 2
      - 0
    .max_flat_workgroup_size: 256
    .name:           OnesweepReorderKeyPair64
    .private_segment_fixed_size: 0
    .sgpr_count:     51
    .sgpr_spill_count: 0
    .symbol:         OnesweepReorderKeyPair64.kd
    .uniform_work_group_size: 1
    .uses_dynamic_stack: false
    .vgpr_count:     83
    .vgpr_spill_count: 0
    .wavefront_size: 64
amdhsa.target:   amdgcn-amd-amdhsa--gfx906
amdhsa.version:
  - 1
  - 2
...

	.end_amdgpu_metadata
